;; amdgpu-corpus repo=ROCm/rocFFT kind=compiled arch=gfx1201 opt=O3
	.text
	.amdgcn_target "amdgcn-amd-amdhsa--gfx1201"
	.amdhsa_code_object_version 6
	.protected	fft_rtc_fwd_len1287_factors_3_13_3_11_wgs_117_tpt_117_half_ip_CI_sbrr_dirReg ; -- Begin function fft_rtc_fwd_len1287_factors_3_13_3_11_wgs_117_tpt_117_half_ip_CI_sbrr_dirReg
	.globl	fft_rtc_fwd_len1287_factors_3_13_3_11_wgs_117_tpt_117_half_ip_CI_sbrr_dirReg
	.p2align	8
	.type	fft_rtc_fwd_len1287_factors_3_13_3_11_wgs_117_tpt_117_half_ip_CI_sbrr_dirReg,@function
fft_rtc_fwd_len1287_factors_3_13_3_11_wgs_117_tpt_117_half_ip_CI_sbrr_dirReg: ; @fft_rtc_fwd_len1287_factors_3_13_3_11_wgs_117_tpt_117_half_ip_CI_sbrr_dirReg
; %bb.0:
	s_clause 0x2
	s_load_b64 s[12:13], s[0:1], 0x18
	s_load_b128 s[4:7], s[0:1], 0x0
	s_load_b64 s[10:11], s[0:1], 0x50
	v_mul_u32_u24_e32 v1, 0x231, v0
	v_mov_b32_e32 v3, 0
	s_delay_alu instid0(VALU_DEP_2) | instskip(NEXT) | instid1(VALU_DEP_1)
	v_lshrrev_b32_e32 v1, 16, v1
	v_add_nc_u32_e32 v5, ttmp9, v1
	v_mov_b32_e32 v1, 0
	v_mov_b32_e32 v2, 0
	;; [unrolled: 1-line block ×3, first 2 shown]
	s_wait_kmcnt 0x0
	s_load_b64 s[8:9], s[12:13], 0x0
	v_cmp_lt_u64_e64 s2, s[6:7], 2
	s_delay_alu instid0(VALU_DEP_1)
	s_and_b32 vcc_lo, exec_lo, s2
	s_cbranch_vccnz .LBB0_8
; %bb.1:
	s_load_b64 s[2:3], s[0:1], 0x10
	v_mov_b32_e32 v1, 0
	v_mov_b32_e32 v2, 0
	s_add_nc_u64 s[14:15], s[12:13], 8
	s_mov_b64 s[16:17], 1
	s_wait_kmcnt 0x0
	s_add_nc_u64 s[18:19], s[2:3], 8
	s_mov_b32 s3, 0
.LBB0_2:                                ; =>This Inner Loop Header: Depth=1
	s_load_b64 s[20:21], s[18:19], 0x0
                                        ; implicit-def: $vgpr7_vgpr8
	s_mov_b32 s2, exec_lo
	s_wait_kmcnt 0x0
	v_or_b32_e32 v4, s21, v6
	s_delay_alu instid0(VALU_DEP_1)
	v_cmpx_ne_u64_e32 0, v[3:4]
	s_wait_alu 0xfffe
	s_xor_b32 s22, exec_lo, s2
	s_cbranch_execz .LBB0_4
; %bb.3:                                ;   in Loop: Header=BB0_2 Depth=1
	s_cvt_f32_u32 s2, s20
	s_cvt_f32_u32 s23, s21
	s_sub_nc_u64 s[26:27], 0, s[20:21]
	s_wait_alu 0xfffe
	s_delay_alu instid0(SALU_CYCLE_1) | instskip(SKIP_1) | instid1(SALU_CYCLE_2)
	s_fmamk_f32 s2, s23, 0x4f800000, s2
	s_wait_alu 0xfffe
	v_s_rcp_f32 s2, s2
	s_delay_alu instid0(TRANS32_DEP_1) | instskip(SKIP_1) | instid1(SALU_CYCLE_2)
	s_mul_f32 s2, s2, 0x5f7ffffc
	s_wait_alu 0xfffe
	s_mul_f32 s23, s2, 0x2f800000
	s_wait_alu 0xfffe
	s_delay_alu instid0(SALU_CYCLE_2) | instskip(SKIP_1) | instid1(SALU_CYCLE_2)
	s_trunc_f32 s23, s23
	s_wait_alu 0xfffe
	s_fmamk_f32 s2, s23, 0xcf800000, s2
	s_cvt_u32_f32 s25, s23
	s_wait_alu 0xfffe
	s_delay_alu instid0(SALU_CYCLE_1) | instskip(SKIP_1) | instid1(SALU_CYCLE_2)
	s_cvt_u32_f32 s24, s2
	s_wait_alu 0xfffe
	s_mul_u64 s[28:29], s[26:27], s[24:25]
	s_wait_alu 0xfffe
	s_mul_hi_u32 s31, s24, s29
	s_mul_i32 s30, s24, s29
	s_mul_hi_u32 s2, s24, s28
	s_mul_i32 s33, s25, s28
	s_wait_alu 0xfffe
	s_add_nc_u64 s[30:31], s[2:3], s[30:31]
	s_mul_hi_u32 s23, s25, s28
	s_mul_hi_u32 s34, s25, s29
	s_add_co_u32 s2, s30, s33
	s_wait_alu 0xfffe
	s_add_co_ci_u32 s2, s31, s23
	s_mul_i32 s28, s25, s29
	s_add_co_ci_u32 s29, s34, 0
	s_wait_alu 0xfffe
	s_add_nc_u64 s[28:29], s[2:3], s[28:29]
	s_wait_alu 0xfffe
	v_add_co_u32 v4, s2, s24, s28
	s_delay_alu instid0(VALU_DEP_1) | instskip(SKIP_1) | instid1(VALU_DEP_1)
	s_cmp_lg_u32 s2, 0
	s_add_co_ci_u32 s25, s25, s29
	v_readfirstlane_b32 s24, v4
	s_wait_alu 0xfffe
	s_delay_alu instid0(VALU_DEP_1)
	s_mul_u64 s[26:27], s[26:27], s[24:25]
	s_wait_alu 0xfffe
	s_mul_hi_u32 s29, s24, s27
	s_mul_i32 s28, s24, s27
	s_mul_hi_u32 s2, s24, s26
	s_mul_i32 s30, s25, s26
	s_wait_alu 0xfffe
	s_add_nc_u64 s[28:29], s[2:3], s[28:29]
	s_mul_hi_u32 s23, s25, s26
	s_mul_hi_u32 s24, s25, s27
	s_wait_alu 0xfffe
	s_add_co_u32 s2, s28, s30
	s_add_co_ci_u32 s2, s29, s23
	s_mul_i32 s26, s25, s27
	s_add_co_ci_u32 s27, s24, 0
	s_wait_alu 0xfffe
	s_add_nc_u64 s[26:27], s[2:3], s[26:27]
	s_wait_alu 0xfffe
	v_add_co_u32 v4, s2, v4, s26
	s_delay_alu instid0(VALU_DEP_1) | instskip(SKIP_1) | instid1(VALU_DEP_1)
	s_cmp_lg_u32 s2, 0
	s_add_co_ci_u32 s2, s25, s27
	v_mul_hi_u32 v13, v5, v4
	s_wait_alu 0xfffe
	v_mad_co_u64_u32 v[7:8], null, v5, s2, 0
	v_mad_co_u64_u32 v[9:10], null, v6, v4, 0
	;; [unrolled: 1-line block ×3, first 2 shown]
	s_delay_alu instid0(VALU_DEP_3) | instskip(SKIP_1) | instid1(VALU_DEP_4)
	v_add_co_u32 v4, vcc_lo, v13, v7
	s_wait_alu 0xfffd
	v_add_co_ci_u32_e32 v7, vcc_lo, 0, v8, vcc_lo
	s_delay_alu instid0(VALU_DEP_2) | instskip(SKIP_1) | instid1(VALU_DEP_2)
	v_add_co_u32 v4, vcc_lo, v4, v9
	s_wait_alu 0xfffd
	v_add_co_ci_u32_e32 v4, vcc_lo, v7, v10, vcc_lo
	s_wait_alu 0xfffd
	v_add_co_ci_u32_e32 v7, vcc_lo, 0, v12, vcc_lo
	s_delay_alu instid0(VALU_DEP_2) | instskip(SKIP_1) | instid1(VALU_DEP_2)
	v_add_co_u32 v4, vcc_lo, v4, v11
	s_wait_alu 0xfffd
	v_add_co_ci_u32_e32 v9, vcc_lo, 0, v7, vcc_lo
	s_delay_alu instid0(VALU_DEP_2) | instskip(SKIP_1) | instid1(VALU_DEP_3)
	v_mul_lo_u32 v10, s21, v4
	v_mad_co_u64_u32 v[7:8], null, s20, v4, 0
	v_mul_lo_u32 v11, s20, v9
	s_delay_alu instid0(VALU_DEP_2) | instskip(NEXT) | instid1(VALU_DEP_2)
	v_sub_co_u32 v7, vcc_lo, v5, v7
	v_add3_u32 v8, v8, v11, v10
	s_delay_alu instid0(VALU_DEP_1) | instskip(SKIP_1) | instid1(VALU_DEP_1)
	v_sub_nc_u32_e32 v10, v6, v8
	s_wait_alu 0xfffd
	v_subrev_co_ci_u32_e64 v10, s2, s21, v10, vcc_lo
	v_add_co_u32 v11, s2, v4, 2
	s_wait_alu 0xf1ff
	v_add_co_ci_u32_e64 v12, s2, 0, v9, s2
	v_sub_co_u32 v13, s2, v7, s20
	v_sub_co_ci_u32_e32 v8, vcc_lo, v6, v8, vcc_lo
	s_wait_alu 0xf1ff
	v_subrev_co_ci_u32_e64 v10, s2, 0, v10, s2
	s_delay_alu instid0(VALU_DEP_3) | instskip(NEXT) | instid1(VALU_DEP_3)
	v_cmp_le_u32_e32 vcc_lo, s20, v13
	v_cmp_eq_u32_e64 s2, s21, v8
	s_wait_alu 0xfffd
	v_cndmask_b32_e64 v13, 0, -1, vcc_lo
	v_cmp_le_u32_e32 vcc_lo, s21, v10
	s_wait_alu 0xfffd
	v_cndmask_b32_e64 v14, 0, -1, vcc_lo
	v_cmp_le_u32_e32 vcc_lo, s20, v7
	;; [unrolled: 3-line block ×3, first 2 shown]
	s_wait_alu 0xfffd
	v_cndmask_b32_e64 v15, 0, -1, vcc_lo
	v_cmp_eq_u32_e32 vcc_lo, s21, v10
	s_wait_alu 0xf1ff
	s_delay_alu instid0(VALU_DEP_2)
	v_cndmask_b32_e64 v7, v15, v7, s2
	s_wait_alu 0xfffd
	v_cndmask_b32_e32 v10, v14, v13, vcc_lo
	v_add_co_u32 v13, vcc_lo, v4, 1
	s_wait_alu 0xfffd
	v_add_co_ci_u32_e32 v14, vcc_lo, 0, v9, vcc_lo
	s_delay_alu instid0(VALU_DEP_3) | instskip(SKIP_2) | instid1(VALU_DEP_3)
	v_cmp_ne_u32_e32 vcc_lo, 0, v10
	s_wait_alu 0xfffd
	v_cndmask_b32_e32 v10, v13, v11, vcc_lo
	v_cndmask_b32_e32 v8, v14, v12, vcc_lo
	v_cmp_ne_u32_e32 vcc_lo, 0, v7
	s_wait_alu 0xfffd
	s_delay_alu instid0(VALU_DEP_2)
	v_dual_cndmask_b32 v7, v4, v10 :: v_dual_cndmask_b32 v8, v9, v8
.LBB0_4:                                ;   in Loop: Header=BB0_2 Depth=1
	s_wait_alu 0xfffe
	s_and_not1_saveexec_b32 s2, s22
	s_cbranch_execz .LBB0_6
; %bb.5:                                ;   in Loop: Header=BB0_2 Depth=1
	v_cvt_f32_u32_e32 v4, s20
	s_sub_co_i32 s22, 0, s20
	s_delay_alu instid0(VALU_DEP_1) | instskip(NEXT) | instid1(TRANS32_DEP_1)
	v_rcp_iflag_f32_e32 v4, v4
	v_mul_f32_e32 v4, 0x4f7ffffe, v4
	s_delay_alu instid0(VALU_DEP_1) | instskip(SKIP_1) | instid1(VALU_DEP_1)
	v_cvt_u32_f32_e32 v4, v4
	s_wait_alu 0xfffe
	v_mul_lo_u32 v7, s22, v4
	s_delay_alu instid0(VALU_DEP_1) | instskip(NEXT) | instid1(VALU_DEP_1)
	v_mul_hi_u32 v7, v4, v7
	v_add_nc_u32_e32 v4, v4, v7
	s_delay_alu instid0(VALU_DEP_1) | instskip(NEXT) | instid1(VALU_DEP_1)
	v_mul_hi_u32 v4, v5, v4
	v_mul_lo_u32 v7, v4, s20
	v_add_nc_u32_e32 v8, 1, v4
	s_delay_alu instid0(VALU_DEP_2) | instskip(NEXT) | instid1(VALU_DEP_1)
	v_sub_nc_u32_e32 v7, v5, v7
	v_subrev_nc_u32_e32 v9, s20, v7
	v_cmp_le_u32_e32 vcc_lo, s20, v7
	s_wait_alu 0xfffd
	s_delay_alu instid0(VALU_DEP_2) | instskip(NEXT) | instid1(VALU_DEP_1)
	v_dual_cndmask_b32 v7, v7, v9 :: v_dual_cndmask_b32 v4, v4, v8
	v_cmp_le_u32_e32 vcc_lo, s20, v7
	s_delay_alu instid0(VALU_DEP_2) | instskip(SKIP_1) | instid1(VALU_DEP_1)
	v_add_nc_u32_e32 v8, 1, v4
	s_wait_alu 0xfffd
	v_dual_cndmask_b32 v7, v4, v8 :: v_dual_mov_b32 v8, v3
.LBB0_6:                                ;   in Loop: Header=BB0_2 Depth=1
	s_wait_alu 0xfffe
	s_or_b32 exec_lo, exec_lo, s2
	s_load_b64 s[22:23], s[14:15], 0x0
	s_delay_alu instid0(VALU_DEP_1)
	v_mul_lo_u32 v4, v8, s20
	v_mul_lo_u32 v11, v7, s21
	v_mad_co_u64_u32 v[9:10], null, v7, s20, 0
	s_add_nc_u64 s[16:17], s[16:17], 1
	s_add_nc_u64 s[14:15], s[14:15], 8
	s_wait_alu 0xfffe
	v_cmp_ge_u64_e64 s2, s[16:17], s[6:7]
	s_add_nc_u64 s[18:19], s[18:19], 8
	s_delay_alu instid0(VALU_DEP_2) | instskip(NEXT) | instid1(VALU_DEP_3)
	v_add3_u32 v4, v10, v11, v4
	v_sub_co_u32 v5, vcc_lo, v5, v9
	s_wait_alu 0xfffd
	s_delay_alu instid0(VALU_DEP_2) | instskip(SKIP_3) | instid1(VALU_DEP_2)
	v_sub_co_ci_u32_e32 v4, vcc_lo, v6, v4, vcc_lo
	s_and_b32 vcc_lo, exec_lo, s2
	s_wait_kmcnt 0x0
	v_mul_lo_u32 v6, s23, v5
	v_mul_lo_u32 v4, s22, v4
	v_mad_co_u64_u32 v[1:2], null, s22, v5, v[1:2]
	s_delay_alu instid0(VALU_DEP_1)
	v_add3_u32 v2, v6, v2, v4
	s_wait_alu 0xfffe
	s_cbranch_vccnz .LBB0_9
; %bb.7:                                ;   in Loop: Header=BB0_2 Depth=1
	v_dual_mov_b32 v5, v7 :: v_dual_mov_b32 v6, v8
	s_branch .LBB0_2
.LBB0_8:
	v_dual_mov_b32 v8, v6 :: v_dual_mov_b32 v7, v5
.LBB0_9:
	s_lshl_b64 s[2:3], s[6:7], 3
	v_mul_hi_u32 v3, 0x2302303, v0
	s_wait_alu 0xfffe
	s_add_nc_u64 s[2:3], s[12:13], s[2:3]
	s_load_b64 s[2:3], s[2:3], 0x0
	s_load_b64 s[0:1], s[0:1], 0x20
	s_delay_alu instid0(VALU_DEP_1) | instskip(NEXT) | instid1(VALU_DEP_1)
	v_mul_u32_u24_e32 v3, 0x75, v3
	v_sub_nc_u32_e32 v15, v0, v3
	s_delay_alu instid0(VALU_DEP_1)
	v_add_nc_u32_e32 v16, 0x75, v15
	v_add_nc_u32_e32 v17, 0xea, v15
	s_wait_kmcnt 0x0
	v_mul_lo_u32 v4, s2, v8
	v_mul_lo_u32 v5, s3, v7
	v_mad_co_u64_u32 v[1:2], null, s2, v7, v[1:2]
	v_cmp_gt_u64_e32 vcc_lo, s[0:1], v[7:8]
	v_cmp_le_u64_e64 s0, s[0:1], v[7:8]
                                        ; implicit-def: $sgpr2
	s_delay_alu instid0(VALU_DEP_3) | instskip(NEXT) | instid1(VALU_DEP_2)
	v_add3_u32 v2, v5, v2, v4
	s_and_saveexec_b32 s1, s0
	s_wait_alu 0xfffe
	s_xor_b32 s0, exec_lo, s1
; %bb.10:
	v_add_nc_u32_e32 v16, 0x75, v15
	v_add_nc_u32_e32 v17, 0xea, v15
	s_mov_b32 s2, 0
; %bb.11:
	s_wait_alu 0xfffe
	s_or_saveexec_b32 s1, s0
	v_lshlrev_b64_e32 v[4:5], 2, v[1:2]
	v_mov_b32_e32 v14, s2
                                        ; implicit-def: $vgpr6
                                        ; implicit-def: $vgpr8
                                        ; implicit-def: $vgpr3
                                        ; implicit-def: $vgpr13
                                        ; implicit-def: $vgpr19
                                        ; implicit-def: $vgpr18
                                        ; implicit-def: $vgpr7
                                        ; implicit-def: $vgpr2
                                        ; implicit-def: $vgpr12
                                        ; implicit-def: $vgpr10
                                        ; implicit-def: $vgpr11
                                        ; implicit-def: $vgpr9
	s_wait_alu 0xfffe
	s_xor_b32 exec_lo, exec_lo, s1
	s_cbranch_execz .LBB0_15
; %bb.12:
	v_mad_co_u64_u32 v[2:3], null, s8, v15, 0
	v_add_nc_u32_e32 v12, 0x1ad, v15
	v_mad_co_u64_u32 v[10:11], null, s8, v16, 0
	v_mad_co_u64_u32 v[23:24], null, s8, v17, 0
	s_delay_alu instid0(VALU_DEP_3) | instskip(SKIP_2) | instid1(VALU_DEP_1)
	v_mad_co_u64_u32 v[6:7], null, s8, v12, 0
	v_mov_b32_e32 v0, v3
	s_mov_b32 s2, exec_lo
	v_mad_co_u64_u32 v[0:1], null, s9, v15, v[0:1]
	s_delay_alu instid0(VALU_DEP_3) | instskip(NEXT) | instid1(VALU_DEP_2)
	v_dual_mov_b32 v1, v7 :: v_dual_add_nc_u32 v14, 0x35a, v15
	v_mov_b32_e32 v3, v0
	s_delay_alu instid0(VALU_DEP_2) | instskip(NEXT) | instid1(VALU_DEP_3)
	v_mad_co_u64_u32 v[8:9], null, s8, v14, 0
	v_mad_co_u64_u32 v[12:13], null, s9, v12, v[1:2]
	s_delay_alu instid0(VALU_DEP_3) | instskip(SKIP_3) | instid1(VALU_DEP_4)
	v_lshlrev_b64_e32 v[2:3], 2, v[2:3]
	v_add_co_u32 v0, s0, s10, v4
	s_wait_alu 0xf1ff
	v_add_co_ci_u32_e64 v1, s0, s11, v5, s0
	v_mov_b32_e32 v7, v12
	v_mad_co_u64_u32 v[12:13], null, s9, v14, v[9:10]
	v_add_nc_u32_e32 v14, 0x222, v15
	v_add_co_u32 v2, s0, v0, v2
	s_delay_alu instid0(VALU_DEP_4)
	v_lshlrev_b64_e32 v[6:7], 2, v[6:7]
	s_wait_alu 0xf1ff
	v_add_co_ci_u32_e64 v3, s0, v1, v3, s0
	v_mov_b32_e32 v9, v12
	v_mad_co_u64_u32 v[12:13], null, s8, v14, 0
	v_add_nc_u32_e32 v27, 0x3cf, v15
	s_delay_alu instid0(VALU_DEP_2)
	v_mad_co_u64_u32 v[18:19], null, s9, v16, v[11:12]
	v_add_co_u32 v19, s0, v0, v6
	s_wait_alu 0xf1ff
	v_add_co_ci_u32_e64 v20, s0, v1, v7, s0
	v_lshlrev_b64_e32 v[6:7], 2, v[8:9]
	v_mov_b32_e32 v8, v13
	v_mad_co_u64_u32 v[21:22], null, s8, v27, 0
	v_dual_mov_b32 v11, v18 :: v_dual_add_nc_u32 v18, 0x444, v15
	s_delay_alu instid0(VALU_DEP_3) | instskip(SKIP_1) | instid1(VALU_DEP_4)
	v_mad_co_u64_u32 v[8:9], null, s9, v14, v[8:9]
	v_add_co_u32 v25, s0, v0, v6
	v_mov_b32_e32 v6, v22
	v_add_nc_u32_e32 v14, 0x297, v15
	s_wait_alu 0xf1ff
	v_add_co_ci_u32_e64 v26, s0, v1, v7, s0
	v_mov_b32_e32 v13, v8
	v_mad_co_u64_u32 v[6:7], null, s9, v27, v[6:7]
	v_mov_b32_e32 v7, v24
	v_mad_co_u64_u32 v[27:28], null, s8, v14, 0
	v_lshlrev_b64_e32 v[9:10], 2, v[10:11]
	v_mad_co_u64_u32 v[29:30], null, s8, v18, 0
	s_delay_alu instid0(VALU_DEP_4) | instskip(SKIP_1) | instid1(VALU_DEP_4)
	v_mad_co_u64_u32 v[7:8], null, s9, v17, v[7:8]
	v_mov_b32_e32 v22, v6
	v_add_co_u32 v9, s0, v0, v9
	v_mov_b32_e32 v8, v28
	v_lshlrev_b64_e32 v[11:12], 2, v[12:13]
	s_wait_alu 0xf1ff
	v_add_co_ci_u32_e64 v10, s0, v1, v10, s0
	v_mov_b32_e32 v24, v7
	v_mad_co_u64_u32 v[6:7], null, s9, v14, v[8:9]
	v_mov_b32_e32 v7, v30
	v_lshlrev_b64_e32 v[13:14], 2, v[21:22]
	v_add_co_u32 v11, s0, v0, v11
	v_lshlrev_b64_e32 v[21:22], 2, v[23:24]
	s_delay_alu instid0(VALU_DEP_4) | instskip(SKIP_4) | instid1(VALU_DEP_3)
	v_mad_co_u64_u32 v[7:8], null, s9, v18, v[7:8]
	v_mov_b32_e32 v28, v6
	s_wait_alu 0xf1ff
	v_add_co_ci_u32_e64 v12, s0, v1, v12, s0
	v_add_co_u32 v13, s0, v0, v13
	v_lshlrev_b64_e32 v[23:24], 2, v[27:28]
	v_mov_b32_e32 v30, v7
	s_wait_alu 0xf1ff
	v_add_co_ci_u32_e64 v14, s0, v1, v14, s0
	v_add_co_u32 v21, s0, v0, v21
	s_delay_alu instid0(VALU_DEP_3)
	v_lshlrev_b64_e32 v[6:7], 2, v[29:30]
	s_wait_alu 0xf1ff
	v_add_co_ci_u32_e64 v22, s0, v1, v22, s0
	v_add_co_u32 v23, s0, v0, v23
	s_wait_alu 0xf1ff
	v_add_co_ci_u32_e64 v24, s0, v1, v24, s0
	v_add_co_u32 v27, s0, v0, v6
	s_wait_alu 0xf1ff
	v_add_co_ci_u32_e64 v28, s0, v1, v7, s0
	s_clause 0x8
	global_load_b32 v6, v[2:3], off
	global_load_b32 v8, v[19:20], off
	;; [unrolled: 1-line block ×9, first 2 shown]
                                        ; implicit-def: $vgpr18
                                        ; implicit-def: $vgpr19
                                        ; implicit-def: $vgpr13
	v_cmpx_gt_u32_e32 0x4e, v15
	s_cbranch_execz .LBB0_14
; %bb.13:
	v_add_nc_u32_e32 v22, 0x15f, v15
	v_add_nc_u32_e32 v24, 0x30c, v15
	s_delay_alu instid0(VALU_DEP_2) | instskip(NEXT) | instid1(VALU_DEP_2)
	v_mad_co_u64_u32 v[13:14], null, s8, v22, 0
	v_mad_co_u64_u32 v[18:19], null, s8, v24, 0
	s_delay_alu instid0(VALU_DEP_2) | instskip(NEXT) | instid1(VALU_DEP_1)
	v_mad_co_u64_u32 v[22:23], null, s9, v22, v[14:15]
	v_dual_mov_b32 v14, v22 :: v_dual_add_nc_u32 v25, 0x4b9, v15
	s_delay_alu instid0(VALU_DEP_1) | instskip(NEXT) | instid1(VALU_DEP_2)
	v_mad_co_u64_u32 v[20:21], null, s8, v25, 0
	v_lshlrev_b64_e32 v[13:14], 2, v[13:14]
	s_delay_alu instid0(VALU_DEP_2) | instskip(NEXT) | instid1(VALU_DEP_3)
	v_mad_co_u64_u32 v[23:24], null, s9, v24, v[19:20]
	v_mad_co_u64_u32 v[24:25], null, s9, v25, v[21:22]
	s_delay_alu instid0(VALU_DEP_3) | instskip(SKIP_1) | instid1(VALU_DEP_4)
	v_add_co_u32 v13, s0, v0, v13
	s_wait_alu 0xf1ff
	v_add_co_ci_u32_e64 v14, s0, v1, v14, s0
	s_delay_alu instid0(VALU_DEP_4) | instskip(NEXT) | instid1(VALU_DEP_4)
	v_mov_b32_e32 v19, v23
	v_mov_b32_e32 v21, v24
	s_delay_alu instid0(VALU_DEP_2) | instskip(NEXT) | instid1(VALU_DEP_2)
	v_lshlrev_b64_e32 v[18:19], 2, v[18:19]
	v_lshlrev_b64_e32 v[20:21], 2, v[20:21]
	s_delay_alu instid0(VALU_DEP_2) | instskip(SKIP_1) | instid1(VALU_DEP_3)
	v_add_co_u32 v22, s0, v0, v18
	s_wait_alu 0xf1ff
	v_add_co_ci_u32_e64 v23, s0, v1, v19, s0
	s_delay_alu instid0(VALU_DEP_3)
	v_add_co_u32 v0, s0, v0, v20
	s_wait_alu 0xf1ff
	v_add_co_ci_u32_e64 v1, s0, v1, v21, s0
	s_clause 0x2
	global_load_b32 v18, v[13:14], off
	global_load_b32 v19, v[22:23], off
	;; [unrolled: 1-line block ×3, first 2 shown]
.LBB0_14:
	s_wait_alu 0xfffe
	s_or_b32 exec_lo, exec_lo, s2
	v_mov_b32_e32 v14, v15
.LBB0_15:
	s_or_b32 exec_lo, exec_lo, s1
	s_wait_loadcnt 0x6
	v_pk_add_f16 v0, v8, v3
	v_pk_add_f16 v1, v8, v3 neg_lo:[0,1] neg_hi:[0,1]
	v_pk_add_f16 v8, v6, v8
	s_wait_loadcnt 0x0
	v_pk_add_f16 v20, v13, v19
	v_pk_add_f16 v21, v19, v13 neg_lo:[0,1] neg_hi:[0,1]
	v_pk_fma_f16 v6, v0, 0.5, v6 op_sel_hi:[1,0,1] neg_lo:[1,0,0] neg_hi:[1,0,0]
	v_pk_mul_f16 v1, 0x3aee, v1 op_sel_hi:[0,1]
	v_pk_add_f16 v19, v19, v18
	v_pk_fma_f16 v18, v20, 0.5, v18 op_sel_hi:[1,0,1] neg_lo:[1,0,0] neg_hi:[1,0,0]
	v_pk_mul_f16 v20, 0x3aee, v21 op_sel_hi:[0,1]
	v_pk_add_f16 v0, v8, v3
	v_pk_add_f16 v8, v6, v1 op_sel:[0,1] op_sel_hi:[1,0] neg_lo:[0,1] neg_hi:[0,1]
	v_pk_add_f16 v1, v6, v1 op_sel:[0,1] op_sel_hi:[1,0]
	v_pk_add_f16 v3, v13, v19
	v_pk_add_f16 v6, v20, v18 op_sel:[1,0] op_sel_hi:[0,1]
	v_pk_add_f16 v22, v18, v20 op_sel:[0,1] op_sel_hi:[1,0] neg_lo:[0,1] neg_hi:[0,1]
	v_mad_u32_u24 v18, v15, 12, 0
	v_bfi_b32 v13, 0xffff, v1, v8
	v_pk_add_f16 v20, v11, v9
	v_bfi_b32 v19, 0xffff, v8, v1
	v_pk_add_f16 v23, v11, v9 neg_lo:[0,1] neg_hi:[0,1]
	ds_store_2addr_b32 v18, v0, v13 offset1:1
	ds_store_b32 v18, v19 offset:8
	v_pk_fma_f16 v13, v20, 0.5, v10 op_sel_hi:[1,0,1] neg_lo:[1,0,0] neg_hi:[1,0,0]
	v_pk_add_f16 v19, v7, v2
	v_pk_add_f16 v20, v2, v7 neg_lo:[0,1] neg_hi:[0,1]
	v_pk_mul_f16 v23, 0x3aee, v23 op_sel_hi:[0,1]
	v_pk_add_f16 v25, v10, v11
	v_lshrrev_b32_e32 v21, 16, v6
	v_pk_fma_f16 v19, v19, 0.5, v12 op_sel_hi:[1,0,1] neg_lo:[1,0,0] neg_hi:[1,0,0]
	v_pk_mul_f16 v20, 0x3aee, v20 op_sel_hi:[0,1]
	v_pk_add_f16 v11, v13, v23 op_sel:[0,1] op_sel_hi:[1,0] neg_lo:[0,1] neg_hi:[0,1]
	v_pk_add_f16 v10, v13, v23 op_sel:[0,1] op_sel_hi:[1,0]
	v_pk_add_f16 v12, v2, v12
	v_mad_i32_i24 v24, v16, 12, 0
	v_pk_add_f16 v2, v19, v20 op_sel:[0,1] op_sel_hi:[1,0] neg_lo:[0,1] neg_hi:[0,1]
	v_pk_add_f16 v13, v19, v20 op_sel:[0,1] op_sel_hi:[1,0]
	v_pk_add_f16 v9, v25, v9
	v_bfi_b32 v19, 0xffff, v10, v11
	v_pk_add_f16 v12, v7, v12
	v_cmp_gt_u32_e64 s0, 0x4e, v15
	v_bfi_b32 v20, 0xffff, v11, v10
	v_mad_i32_i24 v23, v17, 12, 0
	v_bfi_b32 v7, 0xffff, v13, v2
	v_bfi_b32 v25, 0xffff, v2, v13
	ds_store_2addr_b32 v24, v9, v19 offset1:1
	ds_store_b32 v24, v20 offset:8
	ds_store_2addr_b32 v23, v12, v7 offset1:1
	ds_store_b32 v23, v25 offset:8
	s_and_saveexec_b32 s1, s0
	s_cbranch_execz .LBB0_17
; %bb.16:
	v_add_nc_u32_e32 v7, 0x1078, v18
	v_bfi_b32 v19, 0xffff, v6, v22
	v_perm_b32 v20, v21, v22, 0x5040100
	ds_store_b32 v18, v3 offset:4212
	ds_store_2addr_b32 v7, v19, v20 offset1:1
.LBB0_17:
	s_wait_alu 0xfffe
	s_or_b32 exec_lo, exec_lo, s1
	v_lshrrev_b32_e32 v28, 16, v1
	v_lshrrev_b32_e32 v30, 16, v10
	;; [unrolled: 1-line block ×3, first 2 shown]
	v_cmp_gt_u32_e64 s1, 0x63, v15
	v_lshrrev_b32_e32 v34, 16, v12
	v_lshrrev_b32_e32 v43, 16, v2
	;; [unrolled: 1-line block ×5, first 2 shown]
	global_wb scope:SCOPE_SE
	s_wait_dscnt 0x0
	s_barrier_signal -1
	s_barrier_wait -1
	global_inv scope:SCOPE_SE
                                        ; implicit-def: $vgpr26
                                        ; implicit-def: $vgpr25
	s_and_saveexec_b32 s2, s1
	s_cbranch_execz .LBB0_19
; %bb.18:
	v_lshlrev_b32_e32 v0, 3, v15
	s_delay_alu instid0(VALU_DEP_1) | instskip(NEXT) | instid1(VALU_DEP_1)
	v_sub_nc_u32_e32 v2, v18, v0
	v_add_nc_u32_e32 v3, 0xc00, v2
	v_add_nc_u32_e32 v6, 0xe00, v2
	;; [unrolled: 1-line block ×5, first 2 shown]
	ds_load_2addr_b32 v[0:1], v2 offset1:99
	ds_load_b32 v25, v2 offset:4752
	ds_load_2addr_b32 v[2:3], v3 offset0:24 offset1:123
	ds_load_2addr_b32 v[6:7], v6 offset0:94 offset1:193
	;; [unrolled: 1-line block ×5, first 2 shown]
	s_wait_dscnt 0x4
	v_lshrrev_b32_e32 v24, 16, v2
	s_wait_dscnt 0x3
	v_lshrrev_b32_e32 v21, 16, v7
	v_lshrrev_b32_e32 v42, 16, v1
	;; [unrolled: 1-line block ×3, first 2 shown]
	s_wait_dscnt 0x2
	v_lshrrev_b32_e32 v28, 16, v8
	v_lshrrev_b32_e32 v41, 16, v9
	s_wait_dscnt 0x1
	v_lshrrev_b32_e32 v44, 16, v10
	v_lshrrev_b32_e32 v30, 16, v11
	s_wait_dscnt 0x0
	v_lshrrev_b32_e32 v34, 16, v12
	v_lshrrev_b32_e32 v43, 16, v13
	v_bfi_b32 v22, 0xffff, v7, v6
.LBB0_19:
	s_wait_alu 0xfffe
	s_or_b32 exec_lo, exec_lo, s2
	v_and_b32_e32 v18, 0xff, v15
	v_lshrrev_b32_e32 v64, 16, v3
	v_lshrrev_b32_e32 v65, 16, v22
	s_delay_alu instid0(VALU_DEP_3) | instskip(NEXT) | instid1(VALU_DEP_1)
	v_mul_lo_u16 v7, 0xab, v18
	v_lshrrev_b16 v19, 9, v7
	s_delay_alu instid0(VALU_DEP_1) | instskip(NEXT) | instid1(VALU_DEP_1)
	v_mul_lo_u16 v7, v19, 3
	v_sub_nc_u16 v7, v15, v7
	s_delay_alu instid0(VALU_DEP_1) | instskip(NEXT) | instid1(VALU_DEP_1)
	v_and_b32_e32 v7, 0xff, v7
	v_mul_u32_u24_e32 v20, 12, v7
	s_delay_alu instid0(VALU_DEP_1)
	v_lshlrev_b32_e32 v20, 2, v20
	s_clause 0x2
	global_load_b128 v[52:55], v20, s[4:5]
	global_load_b128 v[56:59], v20, s[4:5] offset:16
	global_load_b128 v[60:63], v20, s[4:5] offset:32
	v_lshrrev_b32_e32 v20, 16, v0
	global_wb scope:SCOPE_SE
	s_wait_loadcnt 0x0
	s_barrier_signal -1
	s_barrier_wait -1
	global_inv scope:SCOPE_SE
	v_lshrrev_b32_e32 v23, 16, v52
	v_lshrrev_b32_e32 v33, 16, v57
	;; [unrolled: 1-line block ×7, first 2 shown]
	v_mul_f16_e32 v51, v42, v23
	v_mul_f16_e32 v40, v1, v23
	;; [unrolled: 1-line block ×5, first 2 shown]
	v_lshrrev_b32_e32 v31, 16, v55
	v_lshrrev_b32_e32 v47, 16, v60
	;; [unrolled: 1-line block ×3, first 2 shown]
	v_mul_f16_e32 v66, v28, v27
	v_mul_f16_e32 v39, v8, v27
	;; [unrolled: 1-line block ×8, first 2 shown]
	v_fma_f16 v51, v1, v52, -v51
	v_fmac_f16_e32 v40, v42, v52
	v_fmac_f16_e32 v35, v34, v57
	v_fma_f16 v34, v25, v63, -v76
	v_fmac_f16_e32 v23, v26, v63
	v_lshrrev_b32_e32 v32, 16, v56
	v_lshrrev_b32_e32 v46, 16, v59
	v_mul_f16_e32 v67, v41, v29
	v_mul_f16_e32 v68, v44, v31
	;; [unrolled: 1-line block ×7, first 2 shown]
	v_fma_f16 v50, v8, v53, -v66
	v_fmac_f16_e32 v39, v28, v53
	v_fmac_f16_e32 v38, v41, v54
	v_fma_f16 v45, v13, v58, -v71
	v_fmac_f16_e32 v33, v43, v58
	v_fma_f16 v41, v22, v62, -v75
	v_fmac_f16_e32 v27, v21, v62
	v_sub_f16_e32 v58, v51, v34
	v_sub_f16_e32 v52, v40, v23
	v_mul_f16_e32 v69, v30, v32
	v_mul_f16_e32 v72, v24, v46
	v_fma_f16 v49, v9, v54, -v67
	v_fma_f16 v43, v3, v60, -v73
	v_fmac_f16_e32 v31, v64, v60
	v_fma_f16 v42, v6, v61, -v74
	v_fmac_f16_e32 v29, v65, v61
	v_add_f16_e32 v1, v51, v34
	v_add_f16_e32 v6, v40, v23
	v_sub_f16_e32 v60, v50, v41
	v_sub_f16_e32 v53, v39, v27
	v_mul_f16_e32 v73, 0xba95, v52
	v_mul_f16_e32 v91, 0xba95, v58
	;; [unrolled: 1-line block ×8, first 2 shown]
	v_fma_f16 v48, v10, v55, -v68
	v_fmac_f16_e32 v37, v44, v55
	v_fma_f16 v47, v11, v56, -v69
	v_fma_f16 v46, v12, v57, -v70
	;; [unrolled: 1-line block ×3, first 2 shown]
	v_add_f16_e32 v2, v50, v41
	v_add_f16_e32 v3, v39, v27
	v_sub_f16_e32 v61, v49, v42
	v_sub_f16_e32 v55, v38, v29
	v_mul_f16_e32 v71, 0xbb7b, v53
	v_mul_f16_e32 v90, 0xbb7b, v60
	;; [unrolled: 1-line block ×6, first 2 shown]
	v_fmamk_f16 v8, v1, 0x388b, v73
	v_fma_f16 v9, v6, 0x388b, -v91
	v_fmamk_f16 v10, v1, 0x2fb7, v96
	v_fma_f16 v11, v6, 0x2fb7, -v100
	;; [unrolled: 2-line block ×3, first 2 shown]
	v_fmac_f16_e32 v36, v30, v56
	v_fmac_f16_e32 v32, v24, v59
	v_add_f16_e32 v21, v49, v42
	v_add_f16_e32 v22, v38, v29
	v_sub_f16_e32 v63, v48, v43
	v_sub_f16_e32 v56, v37, v31
	v_mul_f16_e32 v69, 0xb3a8, v55
	v_mul_f16_e32 v82, 0xb3a8, v61
	v_mul_f16_e32 v94, 0x3b7b, v55
	v_mul_f16_e32 v99, 0x3b7b, v61
	v_mul_f16_e32 v105, 0x3770, v55
	v_mul_f16_e32 v110, 0x3770, v61
	v_fmamk_f16 v13, v2, 0xb5ac, v71
	v_fma_f16 v70, v3, 0xb5ac, -v90
	v_fmamk_f16 v75, v2, 0xbbc4, v95
	v_fma_f16 v77, v3, 0xbbc4, -v101
	v_fmamk_f16 v78, v2, 0xb9fd, v107
	v_fma_f16 v79, v3, 0xb9fd, -v113
	v_add_f16_e32 v8, v0, v8
	v_add_f16_e32 v9, v20, v9
	v_add_f16_e32 v10, v0, v10
	v_add_f16_e32 v11, v20, v11
	v_add_f16_e32 v12, v0, v12
	v_add_f16_e32 v67, v20, v67
	v_add_f16_e32 v24, v48, v43
	v_add_f16_e32 v25, v37, v31
	v_sub_f16_e32 v62, v47, v44
	v_sub_f16_e32 v57, v36, v32
	v_mul_f16_e32 v68, 0x394e, v56
	v_mul_f16_e32 v76, 0x394e, v63
	v_mul_f16_e32 v92, 0x3770, v56
	v_mul_f16_e32 v98, 0x3770, v63
	v_mul_f16_e32 v104, 0xbbf1, v56
	v_mul_f16_e32 v111, 0xbbf1, v63
	v_fmamk_f16 v80, v21, 0xbbc4, v69
	v_fma_f16 v83, v22, 0xbbc4, -v82
	v_fmamk_f16 v84, v21, 0xb5ac, v94
	v_fma_f16 v85, v22, 0xb5ac, -v99
	v_fmamk_f16 v86, v21, 0x3b15, v105
	v_fma_f16 v87, v22, 0x3b15, -v110
	v_add_f16_e32 v8, v13, v8
	v_add_f16_e32 v9, v70, v9
	v_add_f16_e32 v10, v75, v10
	v_add_f16_e32 v11, v77, v11
	v_add_f16_e32 v12, v78, v12
	v_add_f16_e32 v13, v79, v67
	;; [unrolled: 22-line block ×3, first 2 shown]
	v_add_f16_e32 v30, v46, v45
	v_add_f16_e32 v54, v35, v33
	v_mul_f16_e32 v65, 0x3770, v59
	v_mul_f16_e32 v72, 0x3770, v64
	;; [unrolled: 1-line block ×6, first 2 shown]
	v_fmamk_f16 v119, v26, 0x2fb7, v66
	v_fma_f16 v120, v28, 0x2fb7, -v74
	v_fmamk_f16 v121, v26, 0x388b, v89
	v_fma_f16 v122, v28, 0x388b, -v97
	;; [unrolled: 2-line block ×3, first 2 shown]
	v_add_f16_e32 v8, v88, v8
	v_add_f16_e32 v9, v114, v9
	;; [unrolled: 1-line block ×6, first 2 shown]
	v_fmamk_f16 v125, v30, 0x3b15, v65
	v_fma_f16 v126, v54, 0x3b15, -v72
	v_fmamk_f16 v127, v30, 0xb9fd, v81
	v_fma_f16 v128, v54, 0xb9fd, -v93
	v_fma_f16 v129, 0x388b, v30, v102
	v_fma_f16 v130, v54, 0x388b, -v108
	v_add_f16_e32 v8, v119, v8
	v_add_f16_e32 v9, v120, v9
	;; [unrolled: 1-line block ×9, first 2 shown]
	v_add_f16_e64 v13, v128, v70
	v_add_f16_e64 v8, v129, v75
	;; [unrolled: 1-line block ×3, first 2 shown]
	s_and_saveexec_b32 s2, s1
	s_cbranch_execz .LBB0_21
; %bb.20:
	v_mul_f16_e32 v87, 0xb3a8, v58
	v_mul_f16_e32 v84, 0x3770, v60
	;; [unrolled: 1-line block ×5, first 2 shown]
	v_fmamk_f16 v78, v6, 0xbbc4, v87
	v_fmamk_f16 v83, v3, 0x3b15, v84
	v_mul_f16_e32 v80, 0x3770, v53
	v_fma_f16 v88, v1, 0xbbc4, -v86
	v_fmamk_f16 v114, v22, 0xb9fd, v77
	v_add_f16_e32 v85, v20, v78
	v_mul_f16_e32 v116, 0xb94e, v58
	v_mul_f16_e32 v78, 0xb94e, v55
	v_fma_f16 v115, v2, 0x3b15, -v80
	v_add_f16_e32 v88, v0, v88
	v_add_f16_e32 v85, v83, v85
	v_fmamk_f16 v117, v25, 0x388b, v75
	v_fmamk_f16 v118, v6, 0xb9fd, v116
	v_mul_f16_e32 v119, 0x3bf1, v60
	v_mul_f16_e32 v70, 0xbb7b, v62
	v_add_f16_e32 v85, v114, v85
	v_mul_f16_e32 v79, 0x3a95, v56
	v_fma_f16 v114, v21, 0xb9fd, -v78
	v_add_f16_e32 v88, v115, v88
	v_mul_f16_e32 v120, 0xba95, v61
	v_add_f16_e32 v85, v117, v85
	v_add_f16_e32 v117, v20, v118
	v_fmamk_f16 v118, v3, 0x2fb7, v119
	v_mul_f16_e32 v67, 0x3bf1, v64
	v_mul_f16_e32 v83, 0xbb7b, v57
	v_fmamk_f16 v115, v28, 0xb5ac, v70
	v_fma_f16 v121, v24, 0x388b, -v79
	v_add_f16_e32 v88, v114, v88
	v_add_f16_e32 v117, v118, v117
	v_fmamk_f16 v118, v22, 0x388b, v120
	v_mul_f16_e32 v122, 0x33a8, v63
	v_fmamk_f16 v114, v54, 0x2fb7, v67
	v_add_f16_e32 v88, v121, v88
	v_fma_f16 v121, v26, 0xb5ac, -v83
	v_mul_f16_e32 v123, 0x3bf1, v59
	v_add_f16_e32 v117, v118, v117
	v_fmamk_f16 v118, v25, 0xbbc4, v122
	v_mul_f16_e32 v124, 0x3770, v62
	v_add_f16_e32 v85, v115, v85
	v_add_f16_e32 v88, v121, v88
	v_fma_f16 v115, v30, 0x2fb7, -v123
	v_add_f16_e32 v117, v118, v117
	v_fmamk_f16 v118, v28, 0x3b15, v124
	v_mul_f16_e32 v121, 0xb94e, v52
	v_add_f16_e32 v85, v114, v85
	v_mul_f16_e32 v114, 0xb5ac, v6
	v_add_f16_e32 v88, v115, v88
	v_add_f16_e32 v115, v118, v117
	v_fma_f16 v117, v1, 0xb9fd, -v121
	v_mul_f16_e32 v118, 0x3bf1, v53
	v_mul_f16_e32 v125, 0xb9fd, v3
	v_add_f16_e32 v112, v112, v114
	v_mul_f16_e32 v114, 0xbb7b, v64
	v_add_f16_e32 v117, v0, v117
	v_fma_f16 v126, v2, 0x2fb7, -v118
	v_add_f16_e32 v113, v113, v125
	v_add_f16_e32 v112, v20, v112
	v_mul_f16_e32 v125, 0xba95, v55
	v_mul_f16_e64 v128, 0x3b15, v22
	v_add_f16_e32 v117, v126, v117
	v_mul_f16_e32 v126, 0x33a8, v56
	v_add_f16_e32 v112, v113, v112
	v_fma_f16 v113, v21, 0x388b, -v125
	v_fmamk_f16 v127, v54, 0xb5ac, v114
	v_add_f16_e64 v110, v110, v128
	v_mul_f16_e64 v128, 0x2fb7, v25
	v_add_f16_e32 v40, v20, v40
	v_add_f16_e32 v113, v113, v117
	v_fma_f16 v117, v24, 0xbbc4, -v126
	v_add_f16_e32 v115, v127, v115
	v_add_f16_e32 v110, v110, v112
	v_add_f16_e64 v111, v111, v128
	v_mul_f16_e32 v112, 0xb5ac, v1
	v_mul_f16_e32 v127, 0x3770, v57
	v_add_f16_e32 v113, v117, v113
	v_mul_f16_e32 v117, 0xbbc4, v28
	v_mul_f16_e64 v128, 0xb9fd, v2
	v_sub_f16_e32 v106, v112, v106
	v_fma_f16 v112, v26, 0x3b15, -v127
	v_add_f16_e32 v110, v111, v110
	v_add_f16_e32 v109, v109, v117
	v_sub_f16_e64 v107, v128, v107
	v_add_f16_e32 v106, v0, v106
	v_add_f16_e32 v111, v112, v113
	v_mul_f16_e32 v112, 0x3b15, v21
	v_add_f16_e32 v109, v109, v110
	v_mul_f16_e32 v110, 0x2fb7, v6
	v_mul_f16_e32 v113, 0x388b, v54
	v_add_f16_e32 v106, v107, v106
	v_sub_f16_e32 v105, v112, v105
	v_mul_f16_e32 v112, 0x2fb7, v24
	v_mul_f16_e32 v117, 0xbbc4, v3
	v_add_f16_e32 v100, v100, v110
	v_add_f16_e32 v108, v108, v113
	;; [unrolled: 1-line block ×3, first 2 shown]
	v_sub_f16_e32 v104, v112, v104
	v_add_f16_e32 v101, v101, v117
	v_mul_f16_e32 v110, 0xbbc4, v26
	v_add_f16_e32 v100, v20, v100
	v_add_f16_e32 v39, v40, v39
	;; [unrolled: 1-line block ×3, first 2 shown]
	v_mul_f16_e32 v109, 0xb5ac, v22
	v_add_f16_e32 v104, v104, v105
	v_sub_f16_e32 v103, v110, v103
	v_add_f16_e32 v100, v101, v100
	v_mul_f16_e32 v101, 0x388b, v30
	v_add_f16_e32 v38, v39, v38
	v_add_f16_e32 v99, v99, v109
	;; [unrolled: 1-line block ×3, first 2 shown]
	v_mul_f16_e32 v104, 0x2fb7, v1
	v_sub_f16_e32 v101, v101, v102
	v_mul_f16_e32 v102, 0x3b15, v25
	v_add_f16_e32 v37, v38, v37
	v_add_f16_e32 v99, v99, v100
	v_mul_f16_e32 v100, 0xbbc4, v2
	v_sub_f16_e32 v96, v104, v96
	v_mul_f16_e32 v104, 0x388b, v6
	v_add_f16_e32 v98, v98, v102
	v_mul_f16_e32 v102, 0x388b, v28
	v_add_f16_e32 v36, v37, v36
	v_sub_f16_e32 v95, v100, v95
	v_add_f16_e32 v96, v0, v96
	v_add_f16_e32 v98, v98, v99
	v_mul_f16_e32 v99, 0xb5ac, v21
	v_add_f16_e32 v97, v97, v102
	v_mul_f16_e32 v102, 0xb5ac, v3
	v_add_f16_e32 v91, v91, v104
	v_add_f16_e32 v51, v0, v51
	;; [unrolled: 1-line block ×4, first 2 shown]
	v_sub_f16_e32 v94, v99, v94
	v_mul_f16_e32 v99, 0xbbc4, v22
	v_add_f16_e32 v90, v90, v102
	v_add_f16_e32 v91, v20, v91
	;; [unrolled: 1-line block ×4, first 2 shown]
	v_mul_f16_e32 v105, 0x388b, v1
	v_add_f16_e32 v94, v94, v95
	v_mul_f16_e32 v95, 0xb9fd, v25
	v_add_f16_e32 v90, v90, v91
	v_add_f16_e32 v82, v82, v99
	;; [unrolled: 1-line block ×3, first 2 shown]
	v_fma_f16 v35, v6, 0xbbc4, -v87
	v_add_f16_e32 v32, v33, v32
	v_mul_f16_e32 v100, 0xb5ac, v2
	v_mul_f16_e32 v102, 0x2fb7, v28
	v_sub_f16_e32 v73, v105, v73
	v_add_f16_e32 v82, v82, v90
	v_add_f16_e32 v76, v76, v95
	v_mul_f16_e32 v52, 0xb770, v52
	v_add_f16_e32 v48, v49, v48
	v_add_f16_e32 v33, v20, v35
	v_fma_f16 v35, v3, 0x3b15, -v84
	v_add_f16_e32 v31, v32, v31
	v_mul_f16_e32 v96, 0xbbc4, v21
	v_add_f16_e32 v73, v0, v73
	v_sub_f16_e32 v71, v100, v71
	v_add_f16_e32 v76, v76, v82
	v_add_f16_e32 v74, v74, v102
	v_mul_f16_e32 v58, 0xb770, v58
	v_fma_f16 v50, v1, 0x3b15, -v52
	v_mul_f16_e32 v53, 0xba95, v53
	v_add_f16_e32 v47, v48, v47
	v_add_f16_e32 v32, v35, v33
	v_fma_f16 v33, v22, 0xb9fd, -v77
	v_add_f16_e32 v29, v31, v29
	v_add_f16_e32 v101, v101, v103
	v_mul_f16_e32 v103, 0xb9fd, v24
	v_add_f16_e32 v97, v97, v98
	v_mul_f16_e32 v98, 0x3b15, v24
	v_mul_f16_e32 v91, 0x3b15, v54
	v_add_f16_e32 v71, v71, v73
	v_sub_f16_e32 v69, v96, v69
	v_add_f16_e32 v74, v74, v76
	v_fmamk_f16 v76, v6, 0x3b15, v58
	v_mul_f16_e32 v60, 0xba95, v60
	v_add_f16_e32 v40, v0, v50
	v_fma_f16 v49, v2, 0x388b, -v53
	v_mul_f16_e32 v50, 0xbbf1, v55
	v_add_f16_e32 v46, v47, v46
	v_add_f16_e32 v32, v33, v32
	v_fma_f16 v33, v25, 0x388b, -v75
	v_add_f16_e32 v27, v29, v27
	v_fma_f16 v29, v6, 0xb9fd, -v116
	v_sub_f16_e32 v92, v98, v92
	v_mul_f16_e32 v98, 0x2fb7, v26
	v_add_f16_e32 v69, v69, v71
	v_sub_f16_e32 v68, v103, v68
	v_add_f16_e32 v71, v72, v91
	v_add_f16_e32 v72, v20, v76
	v_fmamk_f16 v76, v3, 0x388b, v60
	v_mul_f16_e32 v61, 0xbbf1, v61
	v_add_f16_e32 v40, v49, v40
	v_fma_f16 v48, v21, 0x2fb7, -v50
	v_mul_f16_e32 v38, 0xbb7b, v56
	v_add_f16_e32 v45, v46, v45
	v_fmac_f16_e32 v86, 0xbbc4, v1
	v_add_f16_e32 v32, v33, v32
	v_fma_f16 v33, v28, 0xb5ac, -v70
	v_add_f16_e32 v29, v20, v29
	v_fma_f16 v35, v3, 0x2fb7, -v119
	v_fmac_f16_e32 v121, 0xb9fd, v1
	v_fma_f16 v6, v6, 0x3b15, -v58
	v_fmac_f16_e32 v52, 0x3b15, v1
	v_add_f16_e32 v92, v92, v94
	v_mul_f16_e32 v94, 0x3b15, v30
	v_add_f16_e32 v68, v68, v69
	v_sub_f16_e32 v66, v98, v66
	v_add_f16_e32 v69, v71, v74
	v_add_f16_e32 v71, v76, v72
	v_fmamk_f16 v72, v22, 0x2fb7, v61
	v_mul_f16_e32 v63, 0xbb7b, v63
	v_add_f16_e32 v40, v48, v40
	v_fma_f16 v37, v24, 0xb5ac, -v38
	v_mul_f16_e32 v46, 0xb94e, v57
	v_add_f16_e32 v44, v45, v44
	v_mul_f16_e32 v104, 0xb9fd, v54
	v_add_f16_e32 v31, v0, v86
	v_fmac_f16_e32 v80, 0x3b15, v2
	v_add_f16_e32 v23, v27, v23
	v_add_f16_e32 v27, v33, v32
	;; [unrolled: 1-line block ×3, first 2 shown]
	v_fma_f16 v33, v54, 0x2fb7, -v67
	v_add_f16_e32 v35, v0, v121
	v_fmac_f16_e32 v118, 0x2fb7, v2
	v_add_f16_e32 v6, v20, v6
	v_fma_f16 v3, v3, 0x388b, -v60
	v_add_f16_e32 v0, v0, v52
	v_fmac_f16_e32 v53, 0x388b, v2
	v_add_f16_e32 v66, v66, v68
	v_sub_f16_e32 v65, v94, v65
	v_add_f16_e32 v68, v72, v71
	v_fmamk_f16 v71, v25, 0xb5ac, v63
	v_mul_f16_e32 v62, 0xb94e, v62
	v_add_f16_e32 v36, v37, v40
	v_fma_f16 v37, v26, 0xb9fd, -v46
	v_mul_f16_e32 v40, 0xb3a8, v59
	v_add_f16_e32 v43, v44, v43
	v_add_f16_e32 v93, v93, v104
	v_mul_f16_e32 v104, 0x388b, v26
	v_add_f16_e32 v31, v80, v31
	v_fmac_f16_e32 v78, 0xb9fd, v21
	v_fma_f16 v32, v22, 0x388b, -v120
	v_add_f16_e32 v27, v33, v27
	v_add_f16_e32 v33, v118, v35
	v_fmac_f16_e32 v125, 0x388b, v21
	v_add_f16_e32 v2, v3, v6
	v_fma_f16 v3, v22, 0x2fb7, -v61
	v_add_f16_e32 v0, v53, v0
	v_fmac_f16_e32 v50, 0x2fb7, v21
	v_add_f16_e32 v51, v65, v66
	v_add_f16_e32 v65, v71, v68
	v_fmamk_f16 v66, v28, 0xb9fd, v62
	v_mul_f16_e32 v39, 0xb3a8, v64
	v_add_f16_e32 v36, v37, v36
	v_fma_f16 v37, v30, 0xbbc4, -v40
	v_add_f16_e32 v42, v43, v42
	v_mul_f16_e32 v99, 0xb9fd, v30
	v_sub_f16_e32 v89, v104, v89
	v_add_f16_e32 v31, v78, v31
	v_fmac_f16_e32 v79, 0x388b, v24
	v_add_f16_e32 v29, v32, v29
	v_fma_f16 v32, v25, 0xbbc4, -v122
	v_add_f16_e32 v1, v125, v33
	v_fmac_f16_e32 v126, 0xbbc4, v24
	v_add_f16_e32 v2, v3, v2
	v_fma_f16 v3, v25, 0xb5ac, -v63
	v_add_f16_e32 v0, v50, v0
	v_fmac_f16_e32 v38, 0xb5ac, v24
	v_mul_f16_e32 v107, 0xbb7b, v59
	v_add_f16_e32 v65, v66, v65
	v_fmamk_f16 v47, v54, 0xbbc4, v39
	v_add_f16_e32 v36, v37, v36
	v_add_f16_e32 v37, v42, v41
	v_and_b32_e32 v19, 0xffff, v19
	v_add_f16_e32 v89, v89, v92
	v_sub_f16_e32 v81, v99, v81
	v_add_f16_e32 v31, v79, v31
	v_fmac_f16_e32 v83, 0xb5ac, v26
	v_add_f16_e32 v29, v32, v29
	v_fma_f16 v32, v28, 0x3b15, -v124
	v_add_f16_e32 v1, v126, v1
	v_fmac_f16_e32 v127, 0x3b15, v26
	v_add_f16_e32 v2, v3, v2
	v_fma_f16 v3, v28, 0xb9fd, -v62
	v_add_f16_e32 v0, v38, v0
	v_fmac_f16_e32 v46, 0xb9fd, v26
	v_fma_f16 v113, v30, 0xb5ac, -v107
	v_add_f16_e32 v47, v47, v65
	v_add_f16_e32 v34, v37, v34
	v_mul_u32_u24_e32 v19, 0x9c, v19
	v_lshlrev_b32_e32 v7, 2, v7
	v_add_f16_e32 v93, v93, v97
	v_add_f16_e32 v73, v81, v89
	;; [unrolled: 1-line block ×3, first 2 shown]
	v_fmac_f16_e32 v123, 0x2fb7, v30
	v_add_f16_e32 v29, v32, v29
	v_fma_f16 v32, v54, 0xb5ac, -v114
	v_add_f16_e32 v1, v127, v1
	v_fmac_f16_e32 v107, 0xb5ac, v30
	v_add_f16_e32 v2, v3, v2
	v_fma_f16 v3, v54, 0xbbc4, -v39
	v_add_f16_e32 v0, v46, v0
	v_fmac_f16_e32 v40, 0xbbc4, v30
	v_add_f16_e32 v106, v113, v111
	v_add3_u32 v7, 0, v19, v7
	v_pack_b32_f16 v19, v34, v23
	v_pack_b32_f16 v20, v36, v47
	v_add_f16_e32 v31, v123, v31
	v_pack_b32_f16 v21, v51, v69
	v_pack_b32_f16 v22, v73, v93
	v_add_f16_e32 v6, v32, v29
	v_add_f16_e32 v1, v107, v1
	;; [unrolled: 1-line block ×4, first 2 shown]
	ds_store_2addr_b32 v7, v19, v20 offset1:3
	ds_store_2addr_b32 v7, v21, v22 offset0:6 offset1:9
	v_pack_b32_f16 v3, v101, v108
	v_pack_b32_f16 v19, v106, v115
	;; [unrolled: 1-line block ×5, first 2 shown]
	v_perm_b32 v6, v9, v8, 0x5040100
	v_perm_b32 v22, v13, v12, 0x5040100
	;; [unrolled: 1-line block ×3, first 2 shown]
	v_pack_b32_f16 v0, v0, v2
	ds_store_2addr_b32 v7, v3, v19 offset0:12 offset1:15
	ds_store_2addr_b32 v7, v20, v21 offset0:18 offset1:21
	ds_store_2addr_b32 v7, v1, v6 offset0:24 offset1:27
	ds_store_2addr_b32 v7, v22, v23 offset0:30 offset1:33
	ds_store_b32 v7, v0 offset:144
.LBB0_21:
	s_wait_alu 0xfffe
	s_or_b32 exec_lo, exec_lo, s2
	v_lshl_add_u32 v19, v15, 2, 0
	v_lshl_add_u32 v20, v16, 2, 0
	global_wb scope:SCOPE_SE
	s_wait_dscnt 0x0
	s_barrier_signal -1
	s_barrier_wait -1
	v_add_nc_u32_e32 v0, 0x600, v19
	v_add_nc_u32_e32 v1, 0xa00, v19
	;; [unrolled: 1-line block ×3, first 2 shown]
	global_inv scope:SCOPE_SE
	v_lshl_add_u32 v21, v17, 2, 0
	ds_load_2addr_b32 v[6:7], v0 offset0:45 offset1:162
	ds_load_2addr_b32 v[2:3], v1 offset0:23 offset1:218
	;; [unrolled: 1-line block ×3, first 2 shown]
	ds_load_b32 v24, v19
	ds_load_b32 v23, v20
	;; [unrolled: 1-line block ×3, first 2 shown]
	s_and_saveexec_b32 s1, s0
	s_cbranch_execz .LBB0_23
; %bb.22:
	ds_load_b32 v8, v19 offset:1404
	ds_load_b32 v10, v19 offset:4836
	;; [unrolled: 1-line block ×3, first 2 shown]
	s_wait_dscnt 0x2
	v_lshrrev_b32_e32 v9, 16, v8
	s_wait_dscnt 0x1
	v_lshrrev_b32_e32 v11, 16, v10
	;; [unrolled: 2-line block ×3, first 2 shown]
.LBB0_23:
	s_wait_alu 0xfffe
	s_or_b32 exec_lo, exec_lo, s1
	v_mul_lo_u16 v18, 0xa5, v18
	v_and_b32_e32 v25, 0xff, v16
	v_and_b32_e32 v27, 0xffff, v17
	s_wait_dscnt 0x5
	v_lshrrev_b32_e32 v37, 16, v6
	s_wait_dscnt 0x4
	v_lshrrev_b32_e32 v38, 16, v3
	v_lshrrev_b16 v18, 8, v18
	v_mul_lo_u16 v25, 0xa5, v25
	v_mul_u32_u24_e32 v27, 0xa41b, v27
	v_lshrrev_b32_e32 v39, 16, v7
	s_wait_dscnt 0x3
	v_lshrrev_b32_e32 v40, 16, v0
	v_sub_nc_u16 v26, v15, v18
	v_lshrrev_b16 v25, 8, v25
	v_lshrrev_b32_e32 v41, 16, v2
	v_lshrrev_b32_e32 v42, 16, v1
	s_wait_dscnt 0x2
	v_lshrrev_b32_e32 v34, 16, v24
	v_lshrrev_b16 v26, 1, v26
	v_sub_nc_u16 v28, v16, v25
	s_wait_dscnt 0x1
	v_lshrrev_b32_e32 v35, 16, v23
	s_wait_dscnt 0x0
	v_lshrrev_b32_e32 v36, 16, v22
	v_and_b32_e32 v26, 0x7f, v26
	v_lshrrev_b16 v28, 1, v28
	s_delay_alu instid0(VALU_DEP_2) | instskip(SKIP_1) | instid1(VALU_DEP_3)
	v_add_nc_u16 v18, v26, v18
	v_lshrrev_b32_e32 v26, 16, v27
	v_and_b32_e32 v27, 0x7f, v28
	s_delay_alu instid0(VALU_DEP_3) | instskip(NEXT) | instid1(VALU_DEP_3)
	v_lshrrev_b16 v18, 5, v18
	v_sub_nc_u16 v28, v17, v26
	s_delay_alu instid0(VALU_DEP_3) | instskip(NEXT) | instid1(VALU_DEP_3)
	v_add_nc_u16 v25, v27, v25
	v_and_b32_e32 v18, 7, v18
	s_delay_alu instid0(VALU_DEP_3) | instskip(NEXT) | instid1(VALU_DEP_3)
	v_lshrrev_b16 v27, 1, v28
	v_lshrrev_b16 v25, 5, v25
	s_delay_alu instid0(VALU_DEP_3) | instskip(NEXT) | instid1(VALU_DEP_3)
	v_mul_lo_u16 v28, v18, 39
	v_add_nc_u16 v26, v27, v26
	s_delay_alu instid0(VALU_DEP_3) | instskip(SKIP_1) | instid1(VALU_DEP_4)
	v_and_b32_e32 v29, 7, v25
	v_and_b32_e32 v18, 0xffff, v18
	v_sub_nc_u16 v25, v15, v28
	s_delay_alu instid0(VALU_DEP_4) | instskip(NEXT) | instid1(VALU_DEP_4)
	v_lshrrev_b16 v30, 5, v26
	v_mul_lo_u16 v26, v29, 39
	s_delay_alu instid0(VALU_DEP_4)
	v_mul_u32_u24_e32 v18, 0x1d4, v18
	v_and_b32_e32 v29, 0xffff, v29
	v_and_b32_e32 v31, 0xff, v25
	v_mul_lo_u16 v25, v30, 39
	v_sub_nc_u16 v16, v16, v26
	v_and_b32_e32 v30, 0xffff, v30
	v_mul_u32_u24_e32 v29, 0x1d4, v29
	v_lshlrev_b32_e32 v26, 3, v31
	v_sub_nc_u16 v25, v17, v25
	v_and_b32_e32 v32, 0xff, v16
	v_mul_u32_u24_e32 v30, 0x1d4, v30
	v_lshlrev_b32_e32 v31, 2, v31
	global_load_b64 v[16:17], v26, s[4:5] offset:144
	v_and_b32_e32 v33, 0xffff, v25
	v_lshlrev_b32_e32 v25, 3, v32
	v_add3_u32 v18, 0, v18, v31
	v_lshlrev_b32_e32 v31, 2, v32
	s_delay_alu instid0(VALU_DEP_4)
	v_lshlrev_b32_e32 v27, 3, v33
	v_lshlrev_b32_e32 v33, 2, v33
	s_clause 0x1
	global_load_b64 v[25:26], v25, s[4:5] offset:144
	global_load_b64 v[27:28], v27, s[4:5] offset:144
	v_add3_u32 v29, 0, v29, v31
	v_add3_u32 v30, 0, v30, v33
	global_wb scope:SCOPE_SE
	s_wait_loadcnt 0x0
	s_barrier_signal -1
	s_barrier_wait -1
	global_inv scope:SCOPE_SE
	v_lshrrev_b32_e32 v32, 16, v16
	v_lshrrev_b32_e32 v33, 16, v17
	s_delay_alu instid0(VALU_DEP_2) | instskip(SKIP_1) | instid1(VALU_DEP_3)
	v_mul_f16_e32 v31, v32, v37
	v_mul_f16_e32 v32, v32, v6
	;; [unrolled: 1-line block ×4, first 2 shown]
	v_lshrrev_b32_e32 v44, 16, v25
	v_lshrrev_b32_e32 v45, 16, v26
	;; [unrolled: 1-line block ×4, first 2 shown]
	v_fma_f16 v6, v16, v6, -v31
	v_fmac_f16_e32 v32, v16, v37
	v_fma_f16 v3, v17, v3, -v43
	v_fmac_f16_e32 v33, v17, v38
	v_mul_f16_e32 v16, v44, v39
	v_mul_f16_e32 v17, v44, v7
	;; [unrolled: 1-line block ×8, first 2 shown]
	v_fma_f16 v7, v25, v7, -v16
	v_fmac_f16_e32 v17, v25, v39
	v_fma_f16 v0, v26, v0, -v31
	v_fmac_f16_e32 v37, v26, v40
	;; [unrolled: 2-line block ×4, first 2 shown]
	v_add_f16_e32 v16, v24, v6
	v_add_f16_e32 v25, v6, v3
	;; [unrolled: 1-line block ×4, first 2 shown]
	v_sub_f16_e32 v26, v32, v33
	v_sub_f16_e32 v6, v6, v3
	v_add_f16_e32 v3, v16, v3
	v_fmac_f16_e32 v24, -0.5, v25
	v_add_f16_e32 v16, v27, v33
	v_fmac_f16_e32 v34, -0.5, v28
	v_add_f16_e32 v27, v7, v0
	v_sub_f16_e32 v28, v17, v37
	v_add_f16_e32 v31, v35, v17
	v_add_f16_e32 v17, v17, v37
	;; [unrolled: 1-line block ×5, first 2 shown]
	v_sub_f16_e32 v7, v7, v0
	v_fmamk_f16 v41, v26, 0x3aee, v24
	v_fmac_f16_e32 v24, 0xbaee, v26
	v_fmamk_f16 v26, v6, 0xbaee, v34
	v_fmac_f16_e32 v23, -0.5, v27
	v_fmac_f16_e32 v35, -0.5, v17
	v_add_f16_e32 v32, v22, v2
	v_sub_f16_e32 v38, v43, v45
	v_add_f16_e32 v39, v36, v43
	v_sub_f16_e32 v2, v2, v1
	v_fmac_f16_e32 v22, -0.5, v33
	v_fmac_f16_e32 v36, -0.5, v40
	v_fmac_f16_e32 v34, 0x3aee, v6
	v_add_f16_e32 v0, v25, v0
	v_add_f16_e32 v6, v31, v37
	v_pack_b32_f16 v3, v3, v16
	v_fmamk_f16 v16, v28, 0x3aee, v23
	v_fmamk_f16 v25, v7, 0xbaee, v35
	v_pack_b32_f16 v26, v41, v26
	v_fmac_f16_e32 v23, 0xbaee, v28
	v_fmac_f16_e32 v35, 0x3aee, v7
	v_add_f16_e32 v1, v32, v1
	v_add_f16_e32 v17, v39, v45
	v_fmamk_f16 v7, v38, 0x3aee, v22
	v_fmamk_f16 v27, v2, 0xbaee, v36
	v_fmac_f16_e32 v22, 0xbaee, v38
	v_fmac_f16_e32 v36, 0x3aee, v2
	v_pack_b32_f16 v2, v24, v34
	v_pack_b32_f16 v0, v0, v6
	ds_store_2addr_b32 v18, v3, v26 offset1:39
	v_pack_b32_f16 v3, v16, v25
	v_pack_b32_f16 v6, v23, v35
	;; [unrolled: 1-line block ×5, first 2 shown]
	ds_store_b32 v18, v2 offset:312
	ds_store_2addr_b32 v29, v0, v3 offset1:39
	ds_store_b32 v29, v6 offset:312
	ds_store_2addr_b32 v30, v1, v7 offset1:39
	ds_store_b32 v30, v16 offset:312
	s_and_saveexec_b32 s1, s0
	s_cbranch_execz .LBB0_25
; %bb.24:
	v_add_nc_u32_e32 v0, 0x15f, v15
	s_delay_alu instid0(VALU_DEP_1) | instskip(NEXT) | instid1(VALU_DEP_1)
	v_and_b32_e32 v1, 0xffff, v0
	v_mul_u32_u24_e32 v1, 0xa41b, v1
	s_delay_alu instid0(VALU_DEP_1) | instskip(NEXT) | instid1(VALU_DEP_1)
	v_lshrrev_b32_e32 v1, 16, v1
	v_sub_nc_u16 v2, v0, v1
	s_delay_alu instid0(VALU_DEP_1) | instskip(NEXT) | instid1(VALU_DEP_1)
	v_lshrrev_b16 v2, 1, v2
	v_add_nc_u16 v1, v2, v1
	s_delay_alu instid0(VALU_DEP_1) | instskip(NEXT) | instid1(VALU_DEP_1)
	v_lshrrev_b16 v2, 5, v1
	v_mul_lo_u16 v1, v2, 39
	v_mul_lo_u16 v2, 0x75, v2
	s_delay_alu instid0(VALU_DEP_2) | instskip(NEXT) | instid1(VALU_DEP_2)
	v_sub_nc_u16 v0, v0, v1
	v_and_b32_e32 v2, 0xffff, v2
	s_delay_alu instid0(VALU_DEP_2) | instskip(NEXT) | instid1(VALU_DEP_1)
	v_and_b32_e32 v3, 0xffff, v0
	v_lshlrev_b32_e32 v0, 3, v3
	global_load_b64 v[0:1], v0, s[4:5] offset:144
	s_wait_loadcnt 0x0
	v_lshrrev_b32_e32 v6, 16, v0
	v_lshrrev_b32_e32 v7, 16, v1
	s_delay_alu instid0(VALU_DEP_2) | instskip(SKIP_1) | instid1(VALU_DEP_3)
	v_mul_f16_e32 v16, v13, v6
	v_mul_f16_e32 v6, v12, v6
	;; [unrolled: 1-line block ×4, first 2 shown]
	s_delay_alu instid0(VALU_DEP_4) | instskip(NEXT) | instid1(VALU_DEP_4)
	v_fma_f16 v12, v12, v0, -v16
	v_fmac_f16_e32 v6, v13, v0
	s_delay_alu instid0(VALU_DEP_4) | instskip(NEXT) | instid1(VALU_DEP_4)
	v_fmac_f16_e32 v17, v11, v1
	v_fma_f16 v0, v10, v1, -v7
	v_lshlrev_b32_e32 v1, 2, v2
	v_lshlrev_b32_e32 v2, 2, v3
	v_add_f16_e32 v11, v9, v6
	v_add_f16_e32 v3, v6, v17
	;; [unrolled: 1-line block ×3, first 2 shown]
	v_sub_f16_e32 v7, v12, v0
	v_add_f16_e32 v12, v8, v12
	v_sub_f16_e32 v6, v6, v17
	v_fma_f16 v3, -0.5, v3, v9
	v_fma_f16 v8, -0.5, v10, v8
	v_add_f16_e32 v9, v11, v17
	v_add_f16_e32 v0, v12, v0
	v_add3_u32 v1, 0, v2, v1
	v_fmamk_f16 v10, v7, 0x3aee, v3
	v_fmac_f16_e32 v3, 0xbaee, v7
	v_fmamk_f16 v7, v6, 0xbaee, v8
	v_fmac_f16_e32 v8, 0x3aee, v6
	v_pack_b32_f16 v0, v0, v9
	s_delay_alu instid0(VALU_DEP_2) | instskip(NEXT) | instid1(VALU_DEP_4)
	v_pack_b32_f16 v2, v8, v3
	v_pack_b32_f16 v3, v7, v10
	ds_store_2addr_b32 v1, v0, v2 offset1:39
	ds_store_b32 v1, v3 offset:312
.LBB0_25:
	s_wait_alu 0xfffe
	s_or_b32 exec_lo, exec_lo, s1
	global_wb scope:SCOPE_SE
	s_wait_dscnt 0x0
	s_barrier_signal -1
	s_barrier_wait -1
	global_inv scope:SCOPE_SE
	s_and_saveexec_b32 s0, vcc_lo
	s_cbranch_execz .LBB0_27
; %bb.26:
	v_mul_u32_u24_e32 v0, 10, v15
	v_mad_co_u64_u32 v[15:16], null, s8, v14, 0
	v_add_nc_u32_e32 v13, 0x1000, v19
	v_add_nc_u32_e32 v37, 0x15f, v14
	s_delay_alu instid0(VALU_DEP_4)
	v_lshlrev_b32_e32 v8, 2, v0
	v_add_nc_u32_e32 v36, 0xea, v14
	v_add_nc_u32_e32 v23, 0x400, v19
	v_add_co_u32 v4, vcc_lo, s10, v4
	s_clause 0x2
	global_load_b64 v[6:7], v8, s[4:5] offset:488
	global_load_b128 v[0:3], v8, s[4:5] offset:456
	global_load_b128 v[9:12], v8, s[4:5] offset:472
	ds_load_b32 v34, v21
	ds_load_b32 v35, v20
	;; [unrolled: 1-line block ×3, first 2 shown]
	ds_load_2addr_b32 v[17:18], v13 offset0:29 offset1:146
	v_mov_b32_e32 v13, v16
	v_mad_co_u64_u32 v[27:28], null, s8, v36, 0
	v_add_nc_u32_e32 v25, 0x800, v19
	s_wait_alu 0xfffd
	v_add_co_ci_u32_e32 v5, vcc_lo, s11, v5, vcc_lo
	v_mad_co_u64_u32 v[29:30], null, s9, v14, v[13:14]
	v_mad_co_u64_u32 v[30:31], null, s8, v37, 0
	v_add_nc_u32_e32 v32, 0x75, v14
	v_add_nc_u32_e32 v21, 0xc00, v19
	s_delay_alu instid0(VALU_DEP_2)
	v_mad_co_u64_u32 v[19:20], null, s8, v32, 0
	s_wait_dscnt 0x2
	v_lshrrev_b32_e32 v13, 16, v35
	v_lshrrev_b32_e32 v38, 16, v34
	s_wait_dscnt 0x0
	v_lshrrev_b32_e32 v39, 16, v17
	s_delay_alu instid0(VALU_DEP_4) | instskip(NEXT) | instid1(VALU_DEP_1)
	v_mov_b32_e32 v16, v20
	v_mad_co_u64_u32 v[32:33], null, s9, v32, v[16:17]
	v_mov_b32_e32 v16, v29
	v_lshrrev_b32_e32 v29, 16, v18
	v_lshrrev_b32_e32 v33, 16, v8
	s_delay_alu instid0(VALU_DEP_3)
	v_lshlrev_b64_e32 v[15:16], 2, v[15:16]
	v_mov_b32_e32 v20, v32
	ds_load_2addr_b32 v[21:22], v21 offset0:51 offset1:168
	ds_load_2addr_b32 v[23:24], v23 offset0:95 offset1:212
	;; [unrolled: 1-line block ×3, first 2 shown]
	v_add_co_u32 v15, vcc_lo, v4, v15
	s_wait_alu 0xfffd
	v_add_co_ci_u32_e32 v16, vcc_lo, v5, v16, vcc_lo
	s_wait_dscnt 0x2
	v_lshrrev_b32_e32 v40, 16, v22
	s_wait_dscnt 0x1
	v_lshrrev_b32_e32 v41, 16, v23
	v_lshrrev_b32_e32 v42, 16, v21
	;; [unrolled: 1-line block ×3, first 2 shown]
	s_wait_dscnt 0x0
	v_lshrrev_b32_e32 v44, 16, v26
	v_lshrrev_b32_e32 v45, 16, v25
	s_wait_loadcnt 0x2
	v_lshrrev_b32_e32 v32, 16, v6
	v_lshrrev_b32_e32 v46, 16, v7
	v_mul_f16_e32 v47, v7, v29
	s_wait_loadcnt 0x1
	v_lshrrev_b32_e32 v48, 16, v0
	v_lshrrev_b32_e32 v49, 16, v1
	;; [unrolled: 1-line block ×4, first 2 shown]
	v_mul_f16_e32 v52, v0, v13
	v_mul_f16_e32 v53, v6, v39
	s_wait_loadcnt 0x0
	v_lshrrev_b32_e32 v57, 16, v11
	v_lshrrev_b32_e32 v58, 16, v12
	v_mul_f16_e32 v54, v1, v38
	v_lshrrev_b32_e32 v55, 16, v9
	v_lshrrev_b32_e32 v56, 16, v10
	v_mul_f16_e32 v59, v12, v40
	v_mul_f16_e32 v60, v2, v41
	;; [unrolled: 1-line block ×6, first 2 shown]
	v_fmac_f16_e32 v47, v46, v18
	v_fmac_f16_e32 v52, v48, v35
	v_mul_f16_e32 v13, v48, v13
	v_mul_f16_e32 v29, v46, v29
	v_fmac_f16_e32 v53, v32, v17
	v_mul_f16_e32 v38, v49, v38
	v_mul_f16_e32 v32, v32, v39
	;; [unrolled: 1-line block ×6, first 2 shown]
	v_fmac_f16_e32 v54, v49, v34
	v_fmac_f16_e32 v59, v58, v22
	;; [unrolled: 1-line block ×7, first 2 shown]
	v_mul_f16_e32 v43, v55, v45
	v_mul_f16_e32 v44, v56, v44
	v_add_f16_e32 v45, v47, v52
	v_fma_f16 v0, v0, v35, -v13
	v_fma_f16 v7, v18, v7, -v29
	;; [unrolled: 1-line block ×7, first 2 shown]
	v_sub_f16_e32 v22, v52, v47
	v_add_f16_e32 v29, v52, v33
	v_add_f16_e32 v13, v53, v54
	;; [unrolled: 1-line block ×3, first 2 shown]
	v_fma_f16 v2, v2, v23, -v39
	v_add_f16_e32 v18, v61, v62
	v_add_f16_e32 v21, v63, v64
	v_fma_f16 v9, v9, v25, -v43
	v_fma_f16 v10, v26, v10, -v44
	v_sub_f16_e32 v23, v54, v53
	v_sub_f16_e32 v24, v60, v59
	;; [unrolled: 1-line block ×3, first 2 shown]
	v_mul_f16_e32 v32, 0xbbad, v45
	v_sub_f16_e32 v34, v0, v7
	v_sub_f16_e32 v38, v1, v6
	;; [unrolled: 1-line block ×3, first 2 shown]
	v_add_f16_e32 v46, v7, v0
	v_mul_f16_e32 v48, 0xb482, v22
	v_mul_f16_e32 v65, 0xba0c, v22
	v_mul_f16_e32 v70, 0xbbeb, v22
	v_add_f16_e32 v0, v0, v8
	v_add_f16_e32 v29, v29, v54
	v_sub_f16_e32 v26, v64, v63
	v_mul_f16_e32 v35, 0x3abb, v13
	v_mul_f16_e32 v39, 0xb93d, v17
	v_sub_f16_e32 v40, v2, v12
	v_mul_f16_e32 v41, 0x36a6, v18
	v_mul_f16_e32 v43, 0xb08e, v21
	v_sub_f16_e32 v44, v9, v10
	v_add_f16_e32 v49, v6, v1
	v_mul_f16_e32 v50, 0x3853, v23
	v_add_f16_e32 v51, v12, v2
	v_mul_f16_e32 v52, 0xba0c, v24
	;; [unrolled: 2-line block ×3, first 2 shown]
	v_mul_f16_e32 v66, 0x3beb, v23
	v_mul_f16_e32 v67, 0xb853, v24
	;; [unrolled: 1-line block ×14, first 2 shown]
	v_fmamk_f16 v54, v34, 0x3482, v32
	v_fmamk_f16 v84, v46, 0xbbad, v48
	v_fmac_f16_e32 v32, 0xb482, v34
	v_fma_f16 v48, v46, 0xbbad, -v48
	v_mul_f16_e32 v89, 0xba0c, v34
	v_mul_f16_e32 v90, 0x3beb, v38
	;; [unrolled: 1-line block ×3, first 2 shown]
	v_fma_f16 v94, v46, 0xb93d, -v65
	v_mul_f16_e32 v99, 0xbbeb, v34
	v_fma_f16 v104, v46, 0xb08e, -v70
	v_mul_f16_e32 v109, 0xbb47, v34
	v_mul_f16_e32 v34, 0xb853, v34
	v_add_f16_e32 v0, v0, v1
	v_add_f16_e32 v1, v29, v60
	v_fmac_f16_e32 v65, 0xb93d, v46
	v_add_f16_e32 v57, v10, v9
	v_mul_f16_e32 v58, 0xbbeb, v26
	v_mul_f16_e32 v69, 0x3b47, v26
	;; [unrolled: 1-line block ×5, first 2 shown]
	v_fmamk_f16 v80, v38, 0xb853, v35
	v_fmamk_f16 v81, v40, 0x3a0c, v39
	v_fmamk_f16 v82, v42, 0xbb47, v41
	v_fmamk_f16 v83, v44, 0x3beb, v43
	v_fmamk_f16 v85, v49, 0x3abb, v50
	v_fmamk_f16 v86, v51, 0xb93d, v52
	v_fmamk_f16 v87, v55, 0x36a6, v56
	v_fmac_f16_e32 v35, 0x3853, v38
	v_fmac_f16_e32 v39, 0xba0c, v40
	;; [unrolled: 1-line block ×4, first 2 shown]
	v_fma_f16 v50, v49, 0x3abb, -v50
	v_fma_f16 v52, v51, 0xb93d, -v52
	;; [unrolled: 1-line block ×3, first 2 shown]
	v_mul_f16_e32 v91, 0xb853, v40
	v_mul_f16_e32 v93, 0x3b47, v44
	v_fma_f16 v95, v49, 0xb08e, -v66
	v_fma_f16 v96, v51, 0x3abb, -v67
	;; [unrolled: 1-line block ×3, first 2 shown]
	v_mul_f16_e32 v100, 0x3482, v38
	v_mul_f16_e32 v101, 0x3b47, v40
	;; [unrolled: 1-line block ×4, first 2 shown]
	v_fma_f16 v105, v49, 0xbbad, -v71
	v_fma_f16 v106, v51, 0x36a6, -v72
	;; [unrolled: 1-line block ×3, first 2 shown]
	v_mul_f16_e32 v110, 0xba0c, v38
	v_mul_f16_e32 v111, 0x3482, v40
	;; [unrolled: 1-line block ×4, first 2 shown]
	v_fma_f16 v114, v46, 0x36a6, -v75
	v_fma_f16 v115, v49, 0xb93d, -v76
	;; [unrolled: 1-line block ×4, first 2 shown]
	v_mul_f16_e32 v38, 0xbb47, v38
	v_mul_f16_e32 v40, 0xbbeb, v40
	;; [unrolled: 1-line block ×4, first 2 shown]
	v_fma_f16 v119, v46, 0x3abb, -v22
	v_fma_f16 v120, v49, 0x36a6, -v23
	v_fma_f16 v121, v51, 0xb08e, -v24
	v_fma_f16 v122, v55, 0xb93d, -v25
	v_fmac_f16_e32 v66, 0xb08e, v49
	v_fmac_f16_e32 v67, 0x3abb, v51
	;; [unrolled: 1-line block ×15, first 2 shown]
	v_add_f16_e32 v29, v54, v33
	v_add_f16_e32 v46, v84, v8
	v_add_f16_e32 v32, v32, v33
	v_add_f16_e32 v48, v48, v8
	v_fmamk_f16 v49, v45, 0xb93d, v89
	v_fmamk_f16 v51, v13, 0xb08e, v90
	;; [unrolled: 1-line block ×3, first 2 shown]
	v_add_f16_e32 v60, v94, v8
	v_fmamk_f16 v84, v45, 0xb08e, v99
	v_add_f16_e32 v104, v104, v8
	v_fmamk_f16 v127, v45, 0x36a6, v109
	v_fma_f16 v132, 0x3abb, v45, v34
	v_add_f16_e32 v0, v0, v2
	v_add_f16_e32 v1, v1, v62
	v_fma_f16 v2, v45, 0xb93d, -v89
	v_fma_f16 v62, v13, 0xb08e, -v90
	v_fma_f16 v90, v18, 0xbbad, -v92
	v_add_f16_e32 v65, v65, v8
	v_fma_f16 v92, v45, 0xb08e, -v99
	v_fmamk_f16 v88, v57, 0xb08e, v58
	v_fma_f16 v58, v57, 0xb08e, -v58
	v_fma_f16 v98, v57, 0x36a6, -v69
	;; [unrolled: 1-line block ×5, first 2 shown]
	v_fmac_f16_e32 v69, 0x36a6, v57
	v_fmac_f16_e32 v74, 0xb93d, v57
	;; [unrolled: 1-line block ×4, first 2 shown]
	v_fmamk_f16 v54, v17, 0x3abb, v91
	v_fmamk_f16 v57, v21, 0x36a6, v93
	;; [unrolled: 1-line block ×6, first 2 shown]
	v_fma_f16 v128, 0xb93d, v13, v110
	v_fma_f16 v129, 0xbbad, v17, v111
	;; [unrolled: 1-line block ×4, first 2 shown]
	v_add_f16_e32 v114, v114, v8
	v_fma_f16 v133, 0x36a6, v13, v38
	v_fma_f16 v134, 0xb08e, v17, v40
	;; [unrolled: 1-line block ×4, first 2 shown]
	v_add_f16_e32 v119, v119, v8
	v_fma_f16 v89, v17, 0x3abb, -v91
	v_fma_f16 v91, v21, 0x36a6, -v93
	;; [unrolled: 1-line block ×6, first 2 shown]
	v_add_f16_e32 v70, v70, v8
	v_fma_f16 v102, v45, 0x36a6, -v109
	v_fma_f16 v103, v13, 0xb93d, -v110
	;; [unrolled: 1-line block ×5, first 2 shown]
	v_add_f16_e32 v75, v75, v8
	v_fma_f16 v34, v45, 0x3abb, -v34
	v_fma_f16 v13, v13, 0x36a6, -v38
	;; [unrolled: 1-line block ×5, first 2 shown]
	v_add_f16_e32 v8, v22, v8
	v_add_f16_e32 v22, v29, v80
	;; [unrolled: 1-line block ×10, first 2 shown]
	v_add_f16_e64 v48, v132, v33
	v_add_f16_e32 v0, v0, v3
	v_add_f16_e32 v2, v2, v33
	;; [unrolled: 1-line block ×18, first 2 shown]
	v_add_f16_e64 v40, v45, v128
	v_add_f16_e64 v44, v48, v133
	v_add_f16_e32 v0, v0, v9
	v_add_f16_e32 v2, v2, v62
	;; [unrolled: 1-line block ×15, first 2 shown]
	v_add_f16_e64 v38, v40, v129
	v_add_f16_e64 v40, v44, v134
	v_add_f16_e32 v2, v2, v89
	v_add_f16_e32 v3, v3, v68
	;; [unrolled: 1-line block ×16, first 2 shown]
	v_add_f16_e64 v34, v38, v130
	v_add_f16_e64 v38, v40, v135
	v_add_f16_e32 v2, v2, v90
	v_add_f16_e32 v40, v3, v69
	v_add_f16_e32 v3, v9, v100
	v_add_f16_e32 v17, v22, v83
	v_add_f16_e32 v22, v23, v88
	v_add_f16_e32 v23, v24, v43
	v_add_f16_e32 v24, v29, v58
	v_add_f16_e32 v29, v33, v98
	v_add_f16_e32 v33, v35, v108
	v_add_f16_e32 v35, v39, v118
	v_add_f16_e32 v39, v41, v123
	v_add_f16_e32 v0, v11, v0
	v_add_f16_e32 v41, v10, v74
	v_add_f16_e32 v9, v42, v110
	v_add_f16_e32 v10, v13, v18
	v_add_f16_e32 v18, v8, v26
	v_add_f16_e32 v13, v25, v57
	v_add_f16_e32 v25, v32, v126
	v_add_f16_e32 v26, v2, v91
	v_add_f16_e32 v32, v3, v101
	v_dual_mov_b32 v2, v28 :: v_dual_mov_b32 v3, v31
	v_add_f16_e32 v1, v63, v1
	v_add_f16_e32 v0, v12, v0
	v_add_f16_e64 v12, v34, v131
	v_add_f16_e32 v34, v9, v111
	v_mad_co_u64_u32 v[8:9], null, s9, v36, v[2:3]
	v_add_f16_e32 v1, v61, v1
	v_add_f16_e32 v0, v6, v0
	v_add_f16_e64 v11, v38, v136
	v_add_f16_e32 v21, v10, v21
	v_add_f16_e32 v65, v75, v76
	;; [unrolled: 1-line block ×3, first 2 shown]
	v_mov_b32_e32 v28, v8
	v_mad_co_u64_u32 v[2:3], null, s9, v37, v[3:4]
	v_add_nc_u32_e32 v38, 0x1d4, v14
	s_delay_alu instid0(VALU_DEP_4)
	v_add_f16_e32 v1, v53, v1
	v_add_f16_e32 v0, v7, v0
	;; [unrolled: 1-line block ×3, first 2 shown]
	v_mov_b32_e32 v31, v2
	v_mad_co_u64_u32 v[6:7], null, s8, v38, 0
	v_add_f16_e32 v1, v47, v1
	s_delay_alu instid0(VALU_DEP_4) | instskip(NEXT) | instid1(VALU_DEP_4)
	v_add_f16_e32 v44, v49, v78
	v_lshlrev_b64_e32 v[8:9], 2, v[30:31]
	s_delay_alu instid0(VALU_DEP_3)
	v_pack_b32_f16 v10, v0, v1
	v_lshlrev_b64_e32 v[0:1], 2, v[19:20]
	v_mov_b32_e32 v3, v7
	v_pack_b32_f16 v7, v39, v11
	v_add_nc_u32_e32 v19, 0x41d, v14
	global_store_b32 v[15:16], v10, off
	v_add_nc_u32_e32 v15, 0x249, v14
	v_add_co_u32 v0, vcc_lo, v4, v0
	v_mad_co_u64_u32 v[2:3], null, s9, v38, v[3:4]
	s_wait_alu 0xfffd
	v_add_co_ci_u32_e32 v1, vcc_lo, v5, v1, vcc_lo
	v_mad_co_u64_u32 v[10:11], null, s8, v15, 0
	v_pack_b32_f16 v16, v35, v12
	global_store_b32 v[0:1], v7, off
	v_lshlrev_b64_e32 v[0:1], 2, v[27:28]
	v_mov_b32_e32 v7, v2
	v_add_f16_e32 v42, v44, v79
	s_delay_alu instid0(VALU_DEP_3) | instskip(NEXT) | instid1(VALU_DEP_3)
	v_add_co_u32 v0, vcc_lo, v4, v0
	v_lshlrev_b64_e32 v[2:3], 2, v[6:7]
	s_wait_alu 0xfffd
	v_add_co_ci_u32_e32 v1, vcc_lo, v5, v1, vcc_lo
	v_mov_b32_e32 v6, v11
	v_add_co_u32 v7, vcc_lo, v4, v8
	s_wait_alu 0xfffd
	v_add_co_ci_u32_e32 v8, vcc_lo, v5, v9, vcc_lo
	v_add_co_u32 v2, vcc_lo, v4, v2
	s_delay_alu instid0(VALU_DEP_3)
	v_mad_co_u64_u32 v[11:12], null, s9, v15, v[6:7]
	v_add_nc_u32_e32 v12, 0x2be, v14
	s_wait_alu 0xfffd
	v_add_co_ci_u32_e32 v3, vcc_lo, v5, v3, vcc_lo
	v_pack_b32_f16 v9, v29, v13
	v_pack_b32_f16 v6, v33, v25
	v_add_nc_u32_e32 v13, 0x333, v14
	v_add_nc_u32_e32 v15, 0x3a8, v14
	s_clause 0x2
	global_store_b32 v[0:1], v16, off
	global_store_b32 v[7:8], v6, off
	;; [unrolled: 1-line block ×3, first 2 shown]
	v_mad_co_u64_u32 v[2:3], null, s8, v12, 0
	v_mad_co_u64_u32 v[6:7], null, s8, v13, 0
	;; [unrolled: 1-line block ×3, first 2 shown]
	v_lshlrev_b64_e32 v[0:1], 2, v[10:11]
	v_pack_b32_f16 v16, v24, v23
	v_mad_co_u64_u32 v[10:11], null, s9, v12, v[3:4]
	v_add_nc_u32_e32 v14, 0x492, v14
	v_mad_co_u64_u32 v[11:12], null, s9, v13, v[7:8]
	v_mad_co_u64_u32 v[12:13], null, s8, v19, 0
	v_add_co_u32 v0, vcc_lo, v4, v0
	s_wait_alu 0xfffd
	v_add_co_ci_u32_e32 v1, vcc_lo, v5, v1, vcc_lo
	v_mov_b32_e32 v7, v9
	v_mov_b32_e32 v3, v10
	global_store_b32 v[0:1], v16, off
	v_pack_b32_f16 v16, v22, v17
	v_lshlrev_b64_e32 v[0:1], 2, v[2:3]
	v_mov_b32_e32 v2, v13
	v_mad_co_u64_u32 v[9:10], null, s9, v15, v[7:8]
	v_mov_b32_e32 v7, v11
	v_mad_co_u64_u32 v[10:11], null, s8, v14, 0
	s_delay_alu instid0(VALU_DEP_4) | instskip(NEXT) | instid1(VALU_DEP_3)
	v_mad_co_u64_u32 v[2:3], null, s9, v19, v[2:3]
	v_lshlrev_b64_e32 v[6:7], 2, v[6:7]
	v_add_co_u32 v0, vcc_lo, v4, v0
	s_wait_alu 0xfffd
	v_add_co_ci_u32_e32 v1, vcc_lo, v5, v1, vcc_lo
	v_mov_b32_e32 v3, v11
	v_mov_b32_e32 v13, v2
	v_lshlrev_b64_e32 v[8:9], 2, v[8:9]
	v_add_co_u32 v2, vcc_lo, v4, v6
	s_delay_alu instid0(VALU_DEP_4)
	v_mad_co_u64_u32 v[14:15], null, s9, v14, v[3:4]
	s_wait_alu 0xfffd
	v_add_co_ci_u32_e32 v3, vcc_lo, v5, v7, vcc_lo
	v_lshlrev_b64_e32 v[6:7], 2, v[12:13]
	v_add_co_u32 v8, vcc_lo, v4, v8
	s_wait_alu 0xfffd
	v_add_co_ci_u32_e32 v9, vcc_lo, v5, v9, vcc_lo
	v_mov_b32_e32 v11, v14
	s_delay_alu instid0(VALU_DEP_4)
	v_add_co_u32 v6, vcc_lo, v4, v6
	v_pack_b32_f16 v15, v40, v26
	s_wait_alu 0xfffd
	v_add_co_ci_u32_e32 v7, vcc_lo, v5, v7, vcc_lo
	v_lshlrev_b64_e32 v[10:11], 2, v[10:11]
	v_pack_b32_f16 v12, v41, v32
	v_pack_b32_f16 v13, v42, v34
	s_delay_alu instid0(VALU_DEP_3) | instskip(SKIP_1) | instid1(VALU_DEP_4)
	v_add_co_u32 v4, vcc_lo, v4, v10
	s_wait_alu 0xfffd
	v_add_co_ci_u32_e32 v5, vcc_lo, v5, v11, vcc_lo
	v_pack_b32_f16 v10, v18, v21
	s_clause 0x4
	global_store_b32 v[0:1], v16, off
	global_store_b32 v[2:3], v15, off
	;; [unrolled: 1-line block ×5, first 2 shown]
.LBB0_27:
	s_nop 0
	s_sendmsg sendmsg(MSG_DEALLOC_VGPRS)
	s_endpgm
	.section	.rodata,"a",@progbits
	.p2align	6, 0x0
	.amdhsa_kernel fft_rtc_fwd_len1287_factors_3_13_3_11_wgs_117_tpt_117_half_ip_CI_sbrr_dirReg
		.amdhsa_group_segment_fixed_size 0
		.amdhsa_private_segment_fixed_size 0
		.amdhsa_kernarg_size 88
		.amdhsa_user_sgpr_count 2
		.amdhsa_user_sgpr_dispatch_ptr 0
		.amdhsa_user_sgpr_queue_ptr 0
		.amdhsa_user_sgpr_kernarg_segment_ptr 1
		.amdhsa_user_sgpr_dispatch_id 0
		.amdhsa_user_sgpr_private_segment_size 0
		.amdhsa_wavefront_size32 1
		.amdhsa_uses_dynamic_stack 0
		.amdhsa_enable_private_segment 0
		.amdhsa_system_sgpr_workgroup_id_x 1
		.amdhsa_system_sgpr_workgroup_id_y 0
		.amdhsa_system_sgpr_workgroup_id_z 0
		.amdhsa_system_sgpr_workgroup_info 0
		.amdhsa_system_vgpr_workitem_id 0
		.amdhsa_next_free_vgpr 137
		.amdhsa_next_free_sgpr 35
		.amdhsa_reserve_vcc 1
		.amdhsa_float_round_mode_32 0
		.amdhsa_float_round_mode_16_64 0
		.amdhsa_float_denorm_mode_32 3
		.amdhsa_float_denorm_mode_16_64 3
		.amdhsa_fp16_overflow 0
		.amdhsa_workgroup_processor_mode 1
		.amdhsa_memory_ordered 1
		.amdhsa_forward_progress 0
		.amdhsa_round_robin_scheduling 0
		.amdhsa_exception_fp_ieee_invalid_op 0
		.amdhsa_exception_fp_denorm_src 0
		.amdhsa_exception_fp_ieee_div_zero 0
		.amdhsa_exception_fp_ieee_overflow 0
		.amdhsa_exception_fp_ieee_underflow 0
		.amdhsa_exception_fp_ieee_inexact 0
		.amdhsa_exception_int_div_zero 0
	.end_amdhsa_kernel
	.text
.Lfunc_end0:
	.size	fft_rtc_fwd_len1287_factors_3_13_3_11_wgs_117_tpt_117_half_ip_CI_sbrr_dirReg, .Lfunc_end0-fft_rtc_fwd_len1287_factors_3_13_3_11_wgs_117_tpt_117_half_ip_CI_sbrr_dirReg
                                        ; -- End function
	.section	.AMDGPU.csdata,"",@progbits
; Kernel info:
; codeLenInByte = 11552
; NumSgprs: 37
; NumVgprs: 137
; ScratchSize: 0
; MemoryBound: 0
; FloatMode: 240
; IeeeMode: 1
; LDSByteSize: 0 bytes/workgroup (compile time only)
; SGPRBlocks: 4
; VGPRBlocks: 17
; NumSGPRsForWavesPerEU: 37
; NumVGPRsForWavesPerEU: 137
; Occupancy: 10
; WaveLimiterHint : 1
; COMPUTE_PGM_RSRC2:SCRATCH_EN: 0
; COMPUTE_PGM_RSRC2:USER_SGPR: 2
; COMPUTE_PGM_RSRC2:TRAP_HANDLER: 0
; COMPUTE_PGM_RSRC2:TGID_X_EN: 1
; COMPUTE_PGM_RSRC2:TGID_Y_EN: 0
; COMPUTE_PGM_RSRC2:TGID_Z_EN: 0
; COMPUTE_PGM_RSRC2:TIDIG_COMP_CNT: 0
	.text
	.p2alignl 7, 3214868480
	.fill 96, 4, 3214868480
	.type	__hip_cuid_b6b91697c199cc33,@object ; @__hip_cuid_b6b91697c199cc33
	.section	.bss,"aw",@nobits
	.globl	__hip_cuid_b6b91697c199cc33
__hip_cuid_b6b91697c199cc33:
	.byte	0                               ; 0x0
	.size	__hip_cuid_b6b91697c199cc33, 1

	.ident	"AMD clang version 19.0.0git (https://github.com/RadeonOpenCompute/llvm-project roc-6.4.0 25133 c7fe45cf4b819c5991fe208aaa96edf142730f1d)"
	.section	".note.GNU-stack","",@progbits
	.addrsig
	.addrsig_sym __hip_cuid_b6b91697c199cc33
	.amdgpu_metadata
---
amdhsa.kernels:
  - .args:
      - .actual_access:  read_only
        .address_space:  global
        .offset:         0
        .size:           8
        .value_kind:     global_buffer
      - .offset:         8
        .size:           8
        .value_kind:     by_value
      - .actual_access:  read_only
        .address_space:  global
        .offset:         16
        .size:           8
        .value_kind:     global_buffer
      - .actual_access:  read_only
        .address_space:  global
        .offset:         24
        .size:           8
        .value_kind:     global_buffer
      - .offset:         32
        .size:           8
        .value_kind:     by_value
      - .actual_access:  read_only
        .address_space:  global
        .offset:         40
        .size:           8
        .value_kind:     global_buffer
      - .actual_access:  read_only
        .address_space:  global
        .offset:         48
        .size:           8
        .value_kind:     global_buffer
      - .offset:         56
        .size:           4
        .value_kind:     by_value
      - .actual_access:  read_only
        .address_space:  global
        .offset:         64
        .size:           8
        .value_kind:     global_buffer
      - .actual_access:  read_only
        .address_space:  global
        .offset:         72
        .size:           8
        .value_kind:     global_buffer
      - .address_space:  global
        .offset:         80
        .size:           8
        .value_kind:     global_buffer
    .group_segment_fixed_size: 0
    .kernarg_segment_align: 8
    .kernarg_segment_size: 88
    .language:       OpenCL C
    .language_version:
      - 2
      - 0
    .max_flat_workgroup_size: 117
    .name:           fft_rtc_fwd_len1287_factors_3_13_3_11_wgs_117_tpt_117_half_ip_CI_sbrr_dirReg
    .private_segment_fixed_size: 0
    .sgpr_count:     37
    .sgpr_spill_count: 0
    .symbol:         fft_rtc_fwd_len1287_factors_3_13_3_11_wgs_117_tpt_117_half_ip_CI_sbrr_dirReg.kd
    .uniform_work_group_size: 1
    .uses_dynamic_stack: false
    .vgpr_count:     137
    .vgpr_spill_count: 0
    .wavefront_size: 32
    .workgroup_processor_mode: 1
amdhsa.target:   amdgcn-amd-amdhsa--gfx1201
amdhsa.version:
  - 1
  - 2
...

	.end_amdgpu_metadata
